;; amdgpu-corpus repo=ROCm/rocFFT kind=compiled arch=gfx950 opt=O3
	.text
	.amdgcn_target "amdgcn-amd-amdhsa--gfx950"
	.amdhsa_code_object_version 6
	.protected	bluestein_single_back_len338_dim1_sp_op_CI_CI ; -- Begin function bluestein_single_back_len338_dim1_sp_op_CI_CI
	.globl	bluestein_single_back_len338_dim1_sp_op_CI_CI
	.p2align	8
	.type	bluestein_single_back_len338_dim1_sp_op_CI_CI,@function
bluestein_single_back_len338_dim1_sp_op_CI_CI: ; @bluestein_single_back_len338_dim1_sp_op_CI_CI
; %bb.0:
	s_load_dwordx4 s[16:19], s[0:1], 0x28
	v_mul_u32_u24_e32 v1, 0x9d9, v0
	v_lshrrev_b32_e32 v1, 16, v1
	v_mov_b32_e32 v53, 0
	v_lshl_add_u32 v64, s2, 1, v1
	v_mov_b32_e32 v65, v53
	s_waitcnt lgkmcnt(0)
	v_cmp_gt_u64_e32 vcc, s[16:17], v[64:65]
	s_and_saveexec_b64 s[2:3], vcc
	s_cbranch_execz .LBB0_10
; %bb.1:
	s_load_dwordx4 s[4:7], s[0:1], 0x18
	s_load_dwordx4 s[8:11], s[0:1], 0x0
	v_mul_lo_u16_e32 v4, 26, v1
	v_sub_u16_e32 v52, v0, v4
	v_mov_b32_e32 v2, s18
	s_waitcnt lgkmcnt(0)
	s_load_dwordx4 s[12:15], s[4:5], 0x0
	v_mov_b32_e32 v3, s19
	v_lshlrev_b32_e32 v32, 3, v52
	s_mov_b32 s16, 0xbf52af12
	s_mov_b32 s34, 0xbf7e222b
	s_waitcnt lgkmcnt(0)
	v_mad_u64_u32 v[4:5], s[2:3], s14, v64, 0
	v_mov_b32_e32 v0, v5
	v_mad_u64_u32 v[6:7], s[2:3], s15, v64, v[0:1]
	v_mov_b32_e32 v5, v6
	;; [unrolled: 2-line block ×4, first 2 shown]
	v_lshl_add_u64 v[2:3], v[4:5], 3, v[2:3]
	v_lshl_add_u64 v[2:3], v[6:7], 3, v[2:3]
	v_mov_b32_e32 v0, 0xd0
	global_load_dwordx2 v[4:5], v[2:3], off
	v_mad_u64_u32 v[2:3], s[2:3], s12, v0, v[2:3]
	s_mul_i32 s2, s13, 0xd0
	s_nop 0
	v_add_u32_e32 v3, s2, v3
	global_load_dwordx2 v[6:7], v[2:3], off
	global_load_dwordx2 v[80:81], v32, s[8:9]
	global_load_dwordx2 v[76:77], v32, s[8:9] offset:208
	global_load_dwordx2 v[72:73], v32, s[8:9] offset:416
	;; [unrolled: 1-line block ×7, first 2 shown]
	v_mad_u64_u32 v[2:3], s[4:5], s12, v0, v[2:3]
	v_add_u32_e32 v3, s2, v3
	global_load_dwordx2 v[8:9], v[2:3], off
	v_mad_u64_u32 v[2:3], s[4:5], s12, v0, v[2:3]
	v_add_u32_e32 v3, s2, v3
	global_load_dwordx2 v[10:11], v[2:3], off
	;; [unrolled: 3-line block ×7, first 2 shown]
	v_mad_u64_u32 v[2:3], s[4:5], s12, v0, v[2:3]
	v_add_u32_e32 v3, s2, v3
	global_load_dwordx2 v[78:79], v32, s[8:9] offset:1664
	global_load_dwordx2 v[22:23], v[2:3], off
	global_load_dwordx2 v[74:75], v32, s[8:9] offset:1872
	global_load_dwordx2 v[66:67], v32, s[8:9] offset:2080
	;; [unrolled: 1-line block ×3, first 2 shown]
	v_mad_u64_u32 v[2:3], s[4:5], s12, v0, v[2:3]
	v_add_u32_e32 v3, s2, v3
	global_load_dwordx2 v[24:25], v[2:3], off
	v_mad_u64_u32 v[2:3], s[4:5], s12, v0, v[2:3]
	v_add_u32_e32 v3, s2, v3
	global_load_dwordx2 v[26:27], v[2:3], off
	global_load_dwordx2 v[60:61], v32, s[8:9] offset:2496
	v_mad_u64_u32 v[2:3], s[4:5], s12, v0, v[2:3]
	v_add_u32_e32 v3, s2, v3
	global_load_dwordx2 v[2:3], v[2:3], off
	v_and_b32_e32 v0, 1, v1
	v_mov_b32_e32 v1, 0xa90
	v_cmp_eq_u32_e32 vcc, 1, v0
	s_load_dwordx4 s[4:7], s[6:7], 0x0
	s_mov_b32 s14, 0xbeedf032
	v_cndmask_b32_e32 v188, 0, v1, vcc
	v_add_u32_e32 v65, v188, v32
	v_add_u32_e32 v33, 0x800, v65
	s_mov_b32 s2, 0x3f116cb1
	s_mov_b32 s12, 0x3f62ad3f
	;; [unrolled: 1-line block ×12, first 2 shown]
	v_cmp_gt_u16_e32 vcc, 13, v52
	s_waitcnt vmcnt(23)
	v_mul_f32_e32 v1, v4, v81
	v_mul_f32_e32 v0, v5, v81
	v_fma_f32 v1, v5, v80, -v1
	v_fmac_f32_e32 v0, v4, v80
	s_waitcnt vmcnt(22)
	v_mul_f32_e32 v5, v6, v77
	v_mul_f32_e32 v4, v7, v77
	v_fma_f32 v5, v7, v76, -v5
	v_fmac_f32_e32 v4, v6, v76
	ds_write2_b64 v65, v[0:1], v[4:5] offset1:26
	s_waitcnt vmcnt(15)
	v_mul_f32_e32 v0, v9, v73
	v_mul_f32_e32 v1, v8, v73
	v_fmac_f32_e32 v0, v8, v72
	v_fma_f32 v1, v9, v72, -v1
	s_waitcnt vmcnt(14)
	v_mul_f32_e32 v4, v11, v71
	v_mul_f32_e32 v5, v10, v71
	v_fmac_f32_e32 v4, v10, v70
	v_fma_f32 v5, v11, v70, -v5
	ds_write2_b64 v65, v[0:1], v[4:5] offset0:52 offset1:78
	s_waitcnt vmcnt(13)
	v_mul_f32_e32 v0, v13, v69
	v_mul_f32_e32 v1, v12, v69
	v_fmac_f32_e32 v0, v12, v68
	s_waitcnt vmcnt(12)
	v_mul_f32_e32 v4, v15, v63
	v_mul_f32_e32 v5, v14, v63
	v_fma_f32 v1, v13, v68, -v1
	v_fmac_f32_e32 v4, v14, v62
	v_fma_f32 v5, v15, v62, -v5
	ds_write2_b64 v65, v[0:1], v[4:5] offset0:104 offset1:130
	s_waitcnt vmcnt(11)
	v_mul_f32_e32 v0, v17, v59
	v_mul_f32_e32 v1, v16, v59
	s_waitcnt vmcnt(10)
	v_mul_f32_e32 v4, v19, v55
	v_mul_f32_e32 v5, v18, v55
	v_fmac_f32_e32 v0, v16, v58
	v_fma_f32 v1, v17, v58, -v1
	v_fmac_f32_e32 v4, v18, v54
	v_fma_f32 v5, v19, v54, -v5
	ds_write2_b64 v65, v[0:1], v[4:5] offset0:156 offset1:182
	s_waitcnt vmcnt(6)
	v_mul_f32_e32 v4, v23, v75
	v_mul_f32_e32 v0, v21, v79
	;; [unrolled: 1-line block ×4, first 2 shown]
	v_fmac_f32_e32 v0, v20, v78
	v_fma_f32 v1, v21, v78, -v1
	v_fmac_f32_e32 v4, v22, v74
	v_fma_f32 v5, v23, v74, -v5
	ds_write2_b64 v65, v[0:1], v[4:5] offset0:208 offset1:234
	s_waitcnt vmcnt(3)
	v_mul_f32_e32 v0, v25, v67
	v_mul_f32_e32 v1, v24, v67
	s_waitcnt vmcnt(2)
	v_mul_f32_e32 v4, v27, v57
	v_mul_f32_e32 v5, v26, v57
	v_fmac_f32_e32 v0, v24, v66
	v_fma_f32 v1, v25, v66, -v1
	v_fmac_f32_e32 v4, v26, v56
	v_fma_f32 v5, v27, v56, -v5
	ds_write2_b64 v33, v[0:1], v[4:5] offset0:4 offset1:30
	s_waitcnt vmcnt(0)
	v_mul_f32_e32 v0, v3, v61
	v_mul_f32_e32 v1, v2, v61
	v_fmac_f32_e32 v0, v2, v60
	v_fma_f32 v1, v3, v60, -v1
	ds_write_b64 v65, v[0:1] offset:2496
	s_waitcnt lgkmcnt(0)
	; wave barrier
	s_waitcnt lgkmcnt(0)
	ds_read2_b64 v[0:3], v65 offset1:26
	ds_read2_b64 v[4:7], v65 offset0:104 offset1:130
	ds_read2_b64 v[20:23], v65 offset0:208 offset1:234
	ds_read2_b64 v[24:27], v65 offset0:52 offset1:78
	ds_read2_b64 v[28:31], v65 offset0:156 offset1:182
	s_waitcnt lgkmcnt(4)
	v_pk_add_f32 v[8:9], v[0:1], v[2:3]
	s_waitcnt lgkmcnt(2)
	v_pk_add_f32 v[10:11], v[22:23], v[4:5]
	;; [unrolled: 2-line block ×3, first 2 shown]
	v_pk_add_f32 v[14:15], v[4:5], v[22:23] neg_lo:[0,1] neg_hi:[0,1]
	v_pk_add_f32 v[8:9], v[8:9], v[26:27]
	v_pk_add_f32 v[18:19], v[20:21], v[6:7]
	;; [unrolled: 1-line block ×3, first 2 shown]
	v_pk_add_f32 v[36:37], v[6:7], v[20:21] neg_lo:[0,1] neg_hi:[0,1]
	v_pk_add_f32 v[8:9], v[4:5], v[6:7]
	ds_read2_b64 v[4:7], v33 offset0:4 offset1:30
	s_waitcnt lgkmcnt(1)
	v_pk_add_f32 v[8:9], v[8:9], v[28:29]
	v_pk_add_f32 v[42:43], v[30:31], v[28:29]
	;; [unrolled: 1-line block ×3, first 2 shown]
	v_pk_add_f32 v[44:45], v[28:29], v[30:31] neg_lo:[0,1] neg_hi:[0,1]
	v_pk_add_f32 v[8:9], v[8:9], v[20:21]
	s_waitcnt lgkmcnt(0)
	v_pk_add_f32 v[86:87], v[4:5], v[26:27]
	v_pk_add_f32 v[8:9], v[8:9], v[22:23]
	v_pk_add_f32 v[92:93], v[26:27], v[4:5] neg_lo:[0,1] neg_hi:[0,1]
	v_pk_add_f32 v[4:5], v[8:9], v[4:5]
	ds_read_b64 v[8:9], v65 offset:2496
	v_pk_add_f32 v[90:91], v[6:7], v[24:25]
	v_pk_add_f32 v[96:97], v[24:25], v[6:7] neg_lo:[0,1] neg_hi:[0,1]
	v_pk_add_f32 v[6:7], v[4:5], v[6:7]
	v_pk_mul_f32 v[12:13], v[96:97], s[16:17] op_sel_hi:[1,0]
	s_waitcnt lgkmcnt(0)
	v_pk_add_f32 v[88:89], v[2:3], v[8:9] neg_lo:[0,1] neg_hi:[0,1]
	v_pk_add_f32 v[16:17], v[6:7], v[8:9]
	v_pk_add_f32 v[84:85], v[8:9], v[2:3]
	v_pk_mul_f32 v[6:7], v[88:89], s[14:15] op_sel_hi:[1,0]
	v_pk_fma_f32 v[4:5], v[90:91], s[2:3], v[12:13] op_sel:[0,0,1] op_sel_hi:[1,0,0]
	v_pk_fma_f32 v[12:13], v[90:91], s[2:3], v[12:13] op_sel:[0,0,1] op_sel_hi:[1,0,0] neg_lo:[0,0,1] neg_hi:[0,0,1]
	v_pk_fma_f32 v[2:3], v[84:85], s[12:13], v[6:7] op_sel:[0,0,1] op_sel_hi:[1,0,0]
	v_pk_fma_f32 v[8:9], v[84:85], s[12:13], v[6:7] op_sel:[0,0,1] op_sel_hi:[1,0,0] neg_lo:[0,0,1] neg_hi:[0,0,1]
	v_mov_b32_e32 v7, v13
	v_mov_b32_e32 v13, v5
	;; [unrolled: 1-line block ×4, first 2 shown]
	v_pk_add_f32 v[8:9], v[0:1], v[8:9]
	s_mov_b32 s14, 0x3df6dbef
	v_pk_add_f32 v[20:21], v[12:13], v[8:9]
	v_pk_mul_f32 v[12:13], v[92:93], s[34:35] op_sel_hi:[1,0]
	v_pk_mul_f32 v[28:29], v[36:37], s[28:29] op_sel_hi:[1,0]
	v_pk_fma_f32 v[8:9], v[86:87], s[14:15], v[12:13] op_sel:[0,0,1] op_sel_hi:[1,0,0]
	v_pk_fma_f32 v[22:23], v[86:87], s[14:15], v[12:13] op_sel:[0,0,1] op_sel_hi:[1,0,0] neg_lo:[0,0,1] neg_hi:[0,0,1]
	v_pk_mul_f32 v[30:31], v[44:45], s[24:25] op_sel_hi:[1,0]
	v_mov_b32_e32 v13, v23
	v_mov_b32_e32 v23, v9
	v_pk_add_f32 v[24:25], v[22:23], v[20:21]
	v_pk_mul_f32 v[20:21], v[14:15], s[20:21] op_sel_hi:[1,0]
	v_mul_lo_u16_e32 v3, 13, v52
	v_pk_fma_f32 v[22:23], v[10:11], s[18:19], v[20:21] op_sel:[0,0,1] op_sel_hi:[1,0,0]
	v_pk_fma_f32 v[26:27], v[10:11], s[18:19], v[20:21] op_sel:[0,0,1] op_sel_hi:[1,0,0] neg_lo:[0,0,1] neg_hi:[0,0,1]
	v_lshl_add_u32 v189, v3, 3, v188
	v_mov_b32_e32 v21, v27
	v_mov_b32_e32 v27, v23
	v_pk_add_f32 v[24:25], v[26:27], v[24:25]
	v_pk_fma_f32 v[26:27], v[18:19], s[26:27], v[28:29] op_sel:[0,0,1] op_sel_hi:[1,0,0]
	v_pk_fma_f32 v[28:29], v[18:19], s[26:27], v[28:29] op_sel:[0,0,1] op_sel_hi:[1,0,0] neg_lo:[0,0,1] neg_hi:[0,0,1]
	v_pk_mul_f32 v[34:35], v[88:89], s[16:17] op_sel_hi:[1,0]
	v_mov_b32_e32 v23, v29
	v_mov_b32_e32 v29, v27
	v_pk_add_f32 v[24:25], v[28:29], v[24:25]
	v_pk_fma_f32 v[28:29], v[42:43], s[22:23], v[30:31] op_sel:[0,0,1] op_sel_hi:[1,0,0]
	v_pk_fma_f32 v[30:31], v[42:43], s[22:23], v[30:31] op_sel:[0,0,1] op_sel_hi:[1,0,0] neg_lo:[0,0,1] neg_hi:[0,0,1]
	s_nop 0
	v_mov_b32_e32 v9, v31
	v_mov_b32_e32 v31, v29
	v_pk_add_f32 v[24:25], v[30:31], v[24:25]
	; wave barrier
	ds_write2_b64 v189, v[16:17], v[24:25] offset1:1
	v_pk_mul_f32 v[16:17], v[96:97], s[20:21] op_sel_hi:[1,0]
	v_pk_fma_f32 v[30:31], v[84:85], s[2:3], v[34:35] op_sel:[0,0,1] op_sel_hi:[1,0,0] neg_lo:[0,0,1] neg_hi:[0,0,1]
	v_pk_fma_f32 v[34:35], v[84:85], s[2:3], v[34:35] op_sel:[0,0,1] op_sel_hi:[1,0,0]
	v_pk_fma_f32 v[24:25], v[90:91], s[18:19], v[16:17] op_sel:[0,0,1] op_sel_hi:[1,0,0] neg_lo:[0,0,1] neg_hi:[0,0,1]
	v_pk_fma_f32 v[16:17], v[90:91], s[18:19], v[16:17] op_sel:[0,0,1] op_sel_hi:[1,0,0]
	v_mov_b32_e32 v40, v30
	v_mov_b32_e32 v41, v35
	;; [unrolled: 1-line block ×4, first 2 shown]
	v_pk_add_f32 v[40:41], v[0:1], v[40:41]
	v_pk_mul_f32 v[106:107], v[88:89], s[34:35] op_sel_hi:[1,0]
	v_pk_add_f32 v[40:41], v[38:39], v[40:41]
	v_pk_mul_f32 v[38:39], v[92:93], s[24:25] op_sel_hi:[1,0]
	v_pk_fma_f32 v[104:105], v[84:85], s[14:15], v[106:107] op_sel:[0,0,1] op_sel_hi:[1,0,0] neg_lo:[0,0,1] neg_hi:[0,0,1]
	v_pk_fma_f32 v[48:49], v[86:87], s[22:23], v[38:39] op_sel:[0,0,1] op_sel_hi:[1,0,0] neg_lo:[0,0,1] neg_hi:[0,0,1]
	v_pk_fma_f32 v[38:39], v[86:87], s[22:23], v[38:39] op_sel:[0,0,1] op_sel_hi:[1,0,0]
	v_mov_b32_e32 v46, v48
	v_mov_b32_e32 v47, v39
	v_pk_add_f32 v[46:47], v[46:47], v[40:41]
	v_pk_mul_f32 v[40:41], v[14:15], s[38:39] op_sel_hi:[1,0]
	v_pk_fma_f32 v[106:107], v[84:85], s[14:15], v[106:107] op_sel:[0,0,1] op_sel_hi:[1,0,0]
	v_pk_fma_f32 v[50:51], v[10:11], s[26:27], v[40:41] op_sel:[0,0,1] op_sel_hi:[1,0,0] neg_lo:[0,0,1] neg_hi:[0,0,1]
	v_pk_fma_f32 v[40:41], v[10:11], s[26:27], v[40:41] op_sel:[0,0,1] op_sel_hi:[1,0,0]
	v_mov_b32_e32 v82, v50
	v_mov_b32_e32 v83, v41
	v_pk_add_f32 v[82:83], v[82:83], v[46:47]
	v_pk_mul_f32 v[46:47], v[36:37], s[30:31] op_sel_hi:[1,0]
	v_mov_b32_e32 v110, v104
	v_pk_fma_f32 v[94:95], v[18:19], s[14:15], v[46:47] op_sel:[0,0,1] op_sel_hi:[1,0,0] neg_lo:[0,0,1] neg_hi:[0,0,1]
	v_pk_fma_f32 v[46:47], v[18:19], s[14:15], v[46:47] op_sel:[0,0,1] op_sel_hi:[1,0,0]
	v_mov_b32_e32 v98, v94
	v_mov_b32_e32 v99, v47
	v_pk_add_f32 v[100:101], v[98:99], v[82:83]
	v_pk_mul_f32 v[82:83], v[44:45], s[36:37] op_sel_hi:[1,0]
	v_mov_b32_e32 v111, v107
	v_pk_fma_f32 v[98:99], v[42:43], s[12:13], v[82:83] op_sel:[0,0,1] op_sel_hi:[1,0,0] neg_lo:[0,0,1] neg_hi:[0,0,1]
	v_pk_fma_f32 v[82:83], v[42:43], s[12:13], v[82:83] op_sel:[0,0,1] op_sel_hi:[1,0,0]
	v_mov_b32_e32 v102, v98
	v_mov_b32_e32 v103, v83
	v_pk_add_f32 v[124:125], v[102:103], v[100:101]
	v_pk_mul_f32 v[100:101], v[96:97], s[24:25] op_sel_hi:[1,0]
	v_pk_add_f32 v[110:111], v[0:1], v[110:111]
	v_pk_fma_f32 v[102:103], v[90:91], s[22:23], v[100:101] op_sel:[0,0,1] op_sel_hi:[1,0,0] neg_lo:[0,0,1] neg_hi:[0,0,1]
	v_pk_fma_f32 v[100:101], v[90:91], s[22:23], v[100:101] op_sel:[0,0,1] op_sel_hi:[1,0,0]
	v_mov_b32_e32 v108, v102
	v_mov_b32_e32 v109, v101
	v_pk_add_f32 v[110:111], v[108:109], v[110:111]
	v_pk_mul_f32 v[108:109], v[92:93], s[40:41] op_sel_hi:[1,0]
	v_pk_mul_f32 v[130:131], v[88:89], s[20:21] op_sel_hi:[1,0]
	v_pk_fma_f32 v[112:113], v[86:87], s[18:19], v[108:109] op_sel:[0,0,1] op_sel_hi:[1,0,0] neg_lo:[0,0,1] neg_hi:[0,0,1]
	v_pk_fma_f32 v[108:109], v[86:87], s[18:19], v[108:109] op_sel:[0,0,1] op_sel_hi:[1,0,0]
	v_mov_b32_e32 v114, v112
	v_mov_b32_e32 v115, v109
	v_pk_add_f32 v[114:115], v[114:115], v[110:111]
	v_pk_mul_f32 v[110:111], v[14:15], s[36:37] op_sel_hi:[1,0]
	v_pk_fma_f32 v[132:133], v[84:85], s[18:19], v[130:131] op_sel:[0,0,1] op_sel_hi:[1,0,0] neg_lo:[0,0,1] neg_hi:[0,0,1]
	v_pk_fma_f32 v[116:117], v[10:11], s[12:13], v[110:111] op_sel:[0,0,1] op_sel_hi:[1,0,0] neg_lo:[0,0,1] neg_hi:[0,0,1]
	v_pk_fma_f32 v[110:111], v[10:11], s[12:13], v[110:111] op_sel:[0,0,1] op_sel_hi:[1,0,0]
	v_mov_b32_e32 v118, v116
	v_mov_b32_e32 v119, v111
	v_pk_add_f32 v[118:119], v[118:119], v[114:115]
	v_pk_mul_f32 v[114:115], v[36:37], s[16:17] op_sel_hi:[1,0]
	v_pk_fma_f32 v[130:131], v[84:85], s[18:19], v[130:131] op_sel:[0,0,1] op_sel_hi:[1,0,0]
	v_pk_fma_f32 v[120:121], v[18:19], s[2:3], v[114:115] op_sel:[0,0,1] op_sel_hi:[1,0,0] neg_lo:[0,0,1] neg_hi:[0,0,1]
	v_pk_fma_f32 v[114:115], v[18:19], s[2:3], v[114:115] op_sel:[0,0,1] op_sel_hi:[1,0,0]
	v_mov_b32_e32 v122, v120
	v_mov_b32_e32 v123, v115
	v_pk_add_f32 v[126:127], v[122:123], v[118:119]
	v_pk_mul_f32 v[118:119], v[44:45], s[28:29] op_sel_hi:[1,0]
	v_mov_b32_e32 v134, v132
	v_pk_fma_f32 v[122:123], v[42:43], s[26:27], v[118:119] op_sel:[0,0,1] op_sel_hi:[1,0,0] neg_lo:[0,0,1] neg_hi:[0,0,1]
	v_pk_fma_f32 v[118:119], v[42:43], s[26:27], v[118:119] op_sel:[0,0,1] op_sel_hi:[1,0,0]
	v_mov_b32_e32 v128, v122
	v_mov_b32_e32 v129, v119
	v_pk_add_f32 v[126:127], v[128:129], v[126:127]
	ds_write2_b64 v189, v[124:125], v[126:127] offset0:2 offset1:3
	v_pk_mul_f32 v[124:125], v[96:97], s[38:39] op_sel_hi:[1,0]
	v_mov_b32_e32 v135, v131
	v_pk_fma_f32 v[126:127], v[90:91], s[26:27], v[124:125] op_sel:[0,0,1] op_sel_hi:[1,0,0] neg_lo:[0,0,1] neg_hi:[0,0,1]
	v_pk_fma_f32 v[124:125], v[90:91], s[26:27], v[124:125] op_sel:[0,0,1] op_sel_hi:[1,0,0]
	v_mov_b32_e32 v128, v126
	v_mov_b32_e32 v129, v125
	v_pk_add_f32 v[134:135], v[0:1], v[134:135]
	s_mov_b32 s38, 0x3f52af12
	v_pk_add_f32 v[128:129], v[128:129], v[134:135]
	v_pk_mul_f32 v[134:135], v[92:93], s[36:37] op_sel_hi:[1,0]
	v_pk_mul_f32 v[156:157], v[88:89], s[28:29] op_sel_hi:[1,0]
	v_pk_fma_f32 v[136:137], v[86:87], s[12:13], v[134:135] op_sel:[0,0,1] op_sel_hi:[1,0,0] neg_lo:[0,0,1] neg_hi:[0,0,1]
	v_pk_fma_f32 v[134:135], v[86:87], s[12:13], v[134:135] op_sel:[0,0,1] op_sel_hi:[1,0,0]
	v_mov_b32_e32 v138, v136
	v_mov_b32_e32 v139, v135
	v_pk_add_f32 v[128:129], v[138:139], v[128:129]
	v_pk_mul_f32 v[138:139], v[14:15], s[34:35] op_sel_hi:[1,0]
	s_mov_b32 s34, 0x3e750f2a
	v_pk_fma_f32 v[140:141], v[10:11], s[14:15], v[138:139] op_sel:[0,0,1] op_sel_hi:[1,0,0] neg_lo:[0,0,1] neg_hi:[0,0,1]
	v_pk_fma_f32 v[138:139], v[10:11], s[14:15], v[138:139] op_sel:[0,0,1] op_sel_hi:[1,0,0]
	v_mov_b32_e32 v142, v140
	v_mov_b32_e32 v143, v139
	v_pk_add_f32 v[128:129], v[142:143], v[128:129]
	v_pk_mul_f32 v[142:143], v[36:37], s[34:35] op_sel_hi:[1,0]
	v_pk_fma_f32 v[158:159], v[84:85], s[26:27], v[156:157] op_sel:[0,0,1] op_sel_hi:[1,0,0] neg_lo:[0,0,1] neg_hi:[0,0,1]
	v_pk_fma_f32 v[144:145], v[18:19], s[22:23], v[142:143] op_sel:[0,0,1] op_sel_hi:[1,0,0] neg_lo:[0,0,1] neg_hi:[0,0,1]
	v_pk_fma_f32 v[142:143], v[18:19], s[22:23], v[142:143] op_sel:[0,0,1] op_sel_hi:[1,0,0]
	v_mov_b32_e32 v146, v144
	v_mov_b32_e32 v147, v143
	v_pk_add_f32 v[128:129], v[146:147], v[128:129]
	v_pk_mul_f32 v[146:147], v[44:45], s[38:39] op_sel_hi:[1,0]
	v_pk_fma_f32 v[156:157], v[84:85], s[26:27], v[156:157] op_sel:[0,0,1] op_sel_hi:[1,0,0]
	v_pk_fma_f32 v[148:149], v[42:43], s[2:3], v[146:147] op_sel:[0,0,1] op_sel_hi:[1,0,0] neg_lo:[0,0,1] neg_hi:[0,0,1]
	v_pk_fma_f32 v[146:147], v[42:43], s[2:3], v[146:147] op_sel:[0,0,1] op_sel_hi:[1,0,0]
	v_mov_b32_e32 v150, v148
	v_mov_b32_e32 v151, v147
	v_pk_add_f32 v[128:129], v[150:151], v[128:129]
	v_pk_mul_f32 v[150:151], v[96:97], s[30:31] op_sel_hi:[1,0]
	v_mov_b32_e32 v160, v158
	v_pk_fma_f32 v[152:153], v[90:91], s[14:15], v[150:151] op_sel:[0,0,1] op_sel_hi:[1,0,0] neg_lo:[0,0,1] neg_hi:[0,0,1]
	v_pk_fma_f32 v[150:151], v[90:91], s[14:15], v[150:151] op_sel:[0,0,1] op_sel_hi:[1,0,0]
	v_mov_b32_e32 v161, v157
	v_mov_b32_e32 v154, v152
	;; [unrolled: 1-line block ×3, first 2 shown]
	v_pk_add_f32 v[160:161], v[0:1], v[160:161]
	v_pk_mul_f32 v[96:97], v[96:97], s[36:37] op_sel_hi:[1,0]
	v_pk_add_f32 v[154:155], v[154:155], v[160:161]
	v_pk_mul_f32 v[160:161], v[92:93], s[16:17] op_sel_hi:[1,0]
	v_pk_mul_f32 v[92:93], v[92:93], s[28:29] op_sel_hi:[1,0]
	v_pk_fma_f32 v[162:163], v[86:87], s[2:3], v[160:161] op_sel:[0,0,1] op_sel_hi:[1,0,0] neg_lo:[0,0,1] neg_hi:[0,0,1]
	v_pk_fma_f32 v[160:161], v[86:87], s[2:3], v[160:161] op_sel:[0,0,1] op_sel_hi:[1,0,0]
	v_mov_b32_e32 v164, v162
	v_mov_b32_e32 v165, v161
	v_pk_add_f32 v[154:155], v[164:165], v[154:155]
	v_pk_mul_f32 v[164:165], v[14:15], s[34:35] op_sel_hi:[1,0]
	v_pk_mul_f32 v[14:15], v[14:15], s[38:39] op_sel_hi:[1,0]
	v_pk_fma_f32 v[166:167], v[10:11], s[22:23], v[164:165] op_sel:[0,0,1] op_sel_hi:[1,0,0] neg_lo:[0,0,1] neg_hi:[0,0,1]
	v_pk_fma_f32 v[164:165], v[10:11], s[22:23], v[164:165] op_sel:[0,0,1] op_sel_hi:[1,0,0]
	v_mov_b32_e32 v168, v166
	v_mov_b32_e32 v169, v165
	v_pk_add_f32 v[154:155], v[168:169], v[154:155]
	v_pk_mul_f32 v[168:169], v[36:37], s[36:37] op_sel_hi:[1,0]
	v_mov_b32_e32 v157, v159
	v_pk_fma_f32 v[170:171], v[18:19], s[12:13], v[168:169] op_sel:[0,0,1] op_sel_hi:[1,0,0] neg_lo:[0,0,1] neg_hi:[0,0,1]
	v_pk_fma_f32 v[168:169], v[18:19], s[12:13], v[168:169] op_sel:[0,0,1] op_sel_hi:[1,0,0]
	v_mov_b32_e32 v172, v170
	v_mov_b32_e32 v173, v169
	v_pk_add_f32 v[154:155], v[172:173], v[154:155]
	v_pk_mul_f32 v[172:173], v[44:45], s[20:21] op_sel_hi:[1,0]
	v_mov_b32_e32 v131, v133
	v_pk_fma_f32 v[174:175], v[42:43], s[18:19], v[172:173] op_sel:[0,0,1] op_sel_hi:[1,0,0] neg_lo:[0,0,1] neg_hi:[0,0,1]
	v_pk_fma_f32 v[172:173], v[42:43], s[18:19], v[172:173] op_sel:[0,0,1] op_sel_hi:[1,0,0]
	v_mov_b32_e32 v176, v174
	v_mov_b32_e32 v177, v173
	v_pk_add_f32 v[154:155], v[176:177], v[154:155]
	ds_write2_b64 v189, v[128:129], v[154:155] offset0:4 offset1:5
	v_pk_fma_f32 v[128:129], v[90:91], s[12:13], v[96:97] op_sel:[0,0,1] op_sel_hi:[1,0,0] neg_lo:[0,0,1] neg_hi:[0,0,1]
	v_pk_fma_f32 v[90:91], v[90:91], s[12:13], v[96:97] op_sel:[0,0,1] op_sel_hi:[1,0,0]
	v_pk_fma_f32 v[96:97], v[86:87], s[26:27], v[92:93] op_sel:[0,0,1] op_sel_hi:[1,0,0] neg_lo:[0,0,1] neg_hi:[0,0,1]
	v_pk_fma_f32 v[86:87], v[86:87], s[26:27], v[92:93] op_sel:[0,0,1] op_sel_hi:[1,0,0]
	;; [unrolled: 2-line block ×3, first 2 shown]
	v_pk_mul_f32 v[14:15], v[36:37], s[20:21] op_sel_hi:[1,0]
	v_mov_b32_e32 v6, v4
	v_pk_fma_f32 v[36:37], v[18:19], s[18:19], v[14:15] op_sel:[0,0,1] op_sel_hi:[1,0,0] neg_lo:[0,0,1] neg_hi:[0,0,1]
	v_pk_fma_f32 v[14:15], v[18:19], s[18:19], v[14:15] op_sel:[0,0,1] op_sel_hi:[1,0,0]
	v_pk_mul_f32 v[18:19], v[44:45], s[30:31] op_sel_hi:[1,0]
	v_mov_b32_e32 v4, v2
	v_pk_fma_f32 v[44:45], v[42:43], s[14:15], v[18:19] op_sel:[0,0,1] op_sel_hi:[1,0,0] neg_lo:[0,0,1] neg_hi:[0,0,1]
	v_pk_fma_f32 v[18:19], v[42:43], s[14:15], v[18:19] op_sel:[0,0,1] op_sel_hi:[1,0,0]
	;; [unrolled: 4-line block ×3, first 2 shown]
	v_mov_b32_e32 v154, v88
	v_mov_b32_e32 v155, v43
	;; [unrolled: 1-line block ×4, first 2 shown]
	v_pk_add_f32 v[154:155], v[0:1], v[154:155]
	v_mov_b32_e32 v43, v89
	v_pk_add_f32 v[84:85], v[84:85], v[154:155]
	v_mov_b32_e32 v154, v96
	v_mov_b32_e32 v155, v87
	v_pk_add_f32 v[84:85], v[154:155], v[84:85]
	v_mov_b32_e32 v154, v92
	;; [unrolled: 3-line block ×3, first 2 shown]
	v_mov_b32_e32 v155, v15
	v_mov_b32_e32 v91, v129
	;; [unrolled: 1-line block ×3, first 2 shown]
	v_pk_add_f32 v[36:37], v[0:1], v[42:43]
	v_mov_b32_e32 v87, v97
	v_pk_add_f32 v[36:37], v[90:91], v[36:37]
	v_mov_b32_e32 v11, v93
	v_pk_add_f32 v[36:37], v[86:87], v[36:37]
	v_pk_add_f32 v[84:85], v[154:155], v[84:85]
	v_pk_add_f32 v[10:11], v[10:11], v[36:37]
	v_mov_b32_e32 v154, v44
	v_mov_b32_e32 v155, v19
	;; [unrolled: 1-line block ×3, first 2 shown]
	v_pk_add_f32 v[10:11], v[14:15], v[10:11]
	v_pk_add_f32 v[84:85], v[154:155], v[84:85]
	;; [unrolled: 1-line block ×3, first 2 shown]
	v_mov_b32_e32 v35, v31
	ds_write2_b64 v189, v[84:85], v[10:11] offset0:6 offset1:7
	v_mov_b32_e32 v151, v153
	v_pk_add_f32 v[10:11], v[0:1], v[156:157]
	v_mov_b32_e32 v125, v127
	v_pk_add_f32 v[14:15], v[0:1], v[130:131]
	v_pk_add_f32 v[2:3], v[0:1], v[4:5]
	v_mov_b32_e32 v101, v103
	v_pk_add_f32 v[4:5], v[0:1], v[106:107]
	v_mov_b32_e32 v17, v25
	;; [unrolled: 2-line block ×21, first 2 shown]
	v_pk_add_f32 v[0:1], v[46:47], v[0:1]
	v_pk_add_f32 v[10:11], v[172:173], v[10:11]
	;; [unrolled: 1-line block ×3, first 2 shown]
	v_mov_b32_e32 v8, v28
	v_pk_add_f32 v[2:3], v[22:23], v[2:3]
	v_pk_add_f32 v[6:7], v[118:119], v[4:5]
	;; [unrolled: 1-line block ×3, first 2 shown]
	ds_write2_b64 v189, v[10:11], v[14:15] offset0:8 offset1:9
	v_pk_add_f32 v[4:5], v[8:9], v[2:3]
	ds_write2_b64 v189, v[6:7], v[0:1] offset0:10 offset1:11
	ds_write_b64 v189, v[4:5] offset:96
	s_waitcnt lgkmcnt(0)
	; wave barrier
	s_waitcnt lgkmcnt(0)
	ds_read2_b64 v[24:27], v65 offset1:26
	ds_read2_b64 v[0:3], v65 offset0:169 offset1:195
	ds_read2_b64 v[16:19], v65 offset0:52 offset1:78
	ds_read2_b64 v[20:23], v65 offset0:221 offset1:247
	ds_read2_b64 v[8:11], v33 offset0:17 offset1:43
	ds_read2_b64 v[12:15], v65 offset0:104 offset1:130
	s_load_dwordx2 s[2:3], s[0:1], 0x38
	v_mov_b32_e32 v33, v53
                                        ; implicit-def: $vgpr28
	s_and_saveexec_b64 s[0:1], vcc
	s_cbranch_execz .LBB0_3
; %bb.2:
	v_add_u32_e32 v4, 0x400, v65
	ds_read2_b64 v[4:7], v4 offset0:28 offset1:197
	s_waitcnt lgkmcnt(0)
	v_mov_b32_e32 v28, v7
.LBB0_3:
	s_or_b64 exec, exec, s[0:1]
	v_add_u16_e32 v7, 26, v52
	s_movk_i32 s0, 0x4f
	v_lshl_add_u64 v[30:31], v[52:53], 0, -13
	v_mul_lo_u16_sdwa v29, v7, s0 dst_sel:DWORD dst_unused:UNUSED_PAD src0_sel:BYTE_0 src1_sel:DWORD
	v_add_u16_e32 v37, 52, v52
	v_cndmask_b32_e64 v31, v31, 0, vcc
	v_cndmask_b32_e32 v30, v30, v52, vcc
	v_lshrrev_b16_e32 v29, 10, v29
	v_mul_lo_u16_sdwa v38, v37, s0 dst_sel:DWORD dst_unused:UNUSED_PAD src0_sel:BYTE_0 src1_sel:DWORD
	v_lshl_add_u64 v[34:35], v[30:31], 3, s[10:11]
	v_mul_lo_u16_e32 v31, 13, v29
	v_lshrrev_b16_e32 v38, 10, v38
	v_sub_u16_e32 v31, v7, v31
	v_mov_b32_e32 v36, 3
	v_mul_lo_u16_e32 v39, 13, v38
	v_lshlrev_b32_sdwa v7, v36, v31 dst_sel:DWORD dst_unused:UNUSED_PAD src0_sel:DWORD src1_sel:BYTE_0
	v_sub_u16_e32 v37, v37, v39
	v_lshlrev_b32_sdwa v39, v36, v37 dst_sel:DWORD dst_unused:UNUSED_PAD src0_sel:DWORD src1_sel:BYTE_0
	global_load_dwordx2 v[88:89], v[34:35], off
	global_load_dwordx2 v[86:87], v7, s[10:11]
	global_load_dwordx2 v[84:85], v39, s[10:11]
	v_add_u16_e32 v7, 0x9c, v52
	v_mul_lo_u16_sdwa v34, v7, s0 dst_sel:DWORD dst_unused:UNUSED_PAD src0_sel:BYTE_0 src1_sel:DWORD
	v_lshrrev_b16_e32 v34, 10, v34
	v_mul_lo_u16_e32 v34, 13, v34
	v_sub_u16_e32 v53, v7, v34
	v_and_b32_e32 v7, 0xff, v53
	v_lshlrev_b32_e32 v34, 3, v7
	global_load_dwordx2 v[82:83], v34, s[10:11]
	v_add_u16_e32 v34, 0x4e, v52
	v_mul_lo_u16_sdwa v35, v34, s0 dst_sel:DWORD dst_unused:UNUSED_PAD src0_sel:BYTE_0 src1_sel:DWORD
	v_lshrrev_b16_e32 v39, 10, v35
	v_mul_lo_u16_e32 v35, 13, v39
	v_sub_u16_e32 v40, v34, v35
	v_lshlrev_b32_sdwa v34, v36, v40 dst_sel:DWORD dst_unused:UNUSED_PAD src0_sel:DWORD src1_sel:BYTE_0
	global_load_dwordx2 v[90:91], v34, s[10:11]
	v_add_u16_e32 v34, 0x68, v52
	v_mul_lo_u16_sdwa v35, v34, s0 dst_sel:DWORD dst_unused:UNUSED_PAD src0_sel:BYTE_0 src1_sel:DWORD
	v_lshrrev_b16_e32 v41, 10, v35
	v_mul_lo_u16_e32 v35, 13, v41
	v_sub_u16_e32 v42, v34, v35
	v_lshlrev_b32_sdwa v34, v36, v42 dst_sel:DWORD dst_unused:UNUSED_PAD src0_sel:DWORD src1_sel:BYTE_0
	;; [unrolled: 7-line block ×3, first 2 shown]
	global_load_dwordx2 v[94:95], v34, s[10:11]
	v_cmp_lt_u16_e64 s[0:1], 12, v52
	v_lshl_add_u64 v[34:35], s[8:9], 0, v[32:33]
	v_mad_legacy_u16 v29, v29, 26, v31
	v_cndmask_b32_e64 v33, 0, 26, s[0:1]
	v_add_u32_e32 v30, v30, v33
	v_lshl_add_u32 v190, v30, 3, v188
	v_mul_u32_u24_e32 v30, 26, v38
	v_mul_u32_u24_e32 v33, 26, v39
	v_add_u32_sdwa v30, v30, v37 dst_sel:DWORD dst_unused:UNUSED_PAD src0_sel:DWORD src1_sel:BYTE_0
	v_add_u32_sdwa v31, v33, v40 dst_sel:DWORD dst_unused:UNUSED_PAD src0_sel:DWORD src1_sel:BYTE_0
	v_lshl_add_u32 v192, v30, 3, v188
	v_lshl_add_u32 v191, v31, 3, v188
	v_and_b32_e32 v29, 0xff, v29
	s_waitcnt lgkmcnt(0)
	; wave barrier
	s_waitcnt lgkmcnt(0)
	v_lshl_add_u32 v193, v29, 3, v188
	s_waitcnt vmcnt(6)
	v_pk_mul_f32 v[30:31], v[0:1], v[88:89] op_sel:[0,1]
	s_nop 0
	v_pk_fma_f32 v[36:37], v[0:1], v[88:89], v[30:31] op_sel:[0,0,1] op_sel_hi:[1,1,0] neg_lo:[0,0,1] neg_hi:[0,0,1]
	v_pk_fma_f32 v[0:1], v[0:1], v[88:89], v[30:31] op_sel:[0,0,1] op_sel_hi:[1,0,0]
	s_waitcnt vmcnt(5)
	v_pk_mul_f32 v[30:31], v[2:3], v[86:87] op_sel:[0,1]
	v_mov_b32_e32 v37, v1
	v_pk_add_f32 v[0:1], v[24:25], v[36:37] neg_lo:[0,1] neg_hi:[0,1]
	s_waitcnt vmcnt(4)
	v_pk_mul_f32 v[36:37], v[20:21], v[84:85] op_sel:[0,1]
	v_pk_fma_f32 v[38:39], v[2:3], v[86:87], v[30:31] op_sel:[0,0,1] op_sel_hi:[1,1,0] neg_lo:[0,0,1] neg_hi:[0,0,1]
	v_pk_fma_f32 v[2:3], v[2:3], v[86:87], v[30:31] op_sel:[0,0,1] op_sel_hi:[1,0,0]
	v_pk_fma_f32 v[24:25], v[24:25], 2.0, v[0:1] op_sel_hi:[1,0,1] neg_lo:[0,0,1] neg_hi:[0,0,1]
	v_pk_fma_f32 v[30:31], v[20:21], v[84:85], v[36:37] op_sel:[0,0,1] op_sel_hi:[1,1,0] neg_lo:[0,0,1] neg_hi:[0,0,1]
	v_pk_fma_f32 v[20:21], v[20:21], v[84:85], v[36:37] op_sel:[0,0,1] op_sel_hi:[1,0,0]
	v_mov_b32_e32 v39, v3
	ds_write2_b64 v190, v[24:25], v[0:1] offset1:13
	v_mov_b32_e32 v31, v21
	v_pk_add_f32 v[0:1], v[26:27], v[38:39] neg_lo:[0,1] neg_hi:[0,1]
	v_pk_add_f32 v[20:21], v[16:17], v[30:31] neg_lo:[0,1] neg_hi:[0,1]
	v_pk_fma_f32 v[24:25], v[26:27], 2.0, v[0:1] op_sel_hi:[1,0,1] neg_lo:[0,0,1] neg_hi:[0,0,1]
	v_pk_fma_f32 v[16:17], v[16:17], 2.0, v[20:21] op_sel_hi:[1,0,1] neg_lo:[0,0,1] neg_hi:[0,0,1]
	ds_write2_b64 v193, v[24:25], v[0:1] offset1:13
	ds_write2_b64 v192, v[16:17], v[20:21] offset1:13
	s_waitcnt vmcnt(2)
	v_pk_mul_f32 v[0:1], v[22:23], v[90:91] op_sel:[0,1]
	v_pk_mul_f32 v[28:29], v[28:29], v[82:83] op_sel_hi:[0,1]
	v_pk_fma_f32 v[16:17], v[22:23], v[90:91], v[0:1] op_sel:[0,0,1] op_sel_hi:[1,1,0] neg_lo:[0,0,1] neg_hi:[0,0,1]
	v_pk_fma_f32 v[0:1], v[22:23], v[90:91], v[0:1] op_sel:[0,0,1] op_sel_hi:[1,0,0]
	v_pk_fma_f32 v[36:37], v[6:7], v[82:83], v[28:29] op_sel:[0,0,1] op_sel_hi:[1,1,0] neg_lo:[0,0,1] neg_hi:[0,0,1]
	v_mov_b32_e32 v17, v1
	v_pk_add_f32 v[0:1], v[18:19], v[16:17] neg_lo:[0,1] neg_hi:[0,1]
	v_pk_fma_f32 v[28:29], v[6:7], v[82:83], v[28:29] op_sel:[0,0,1] op_sel_hi:[0,1,0]
	v_pk_fma_f32 v[16:17], v[18:19], 2.0, v[0:1] op_sel_hi:[1,0,1] neg_lo:[0,0,1] neg_hi:[0,0,1]
	ds_write2_b64 v191, v[16:17], v[0:1] offset1:13
	v_mul_u32_u24_e32 v0, 26, v41
	v_add_u32_sdwa v0, v0, v42 dst_sel:DWORD dst_unused:UNUSED_PAD src0_sel:DWORD src1_sel:BYTE_0
	v_lshl_add_u32 v194, v0, 3, v188
	s_waitcnt vmcnt(1)
	v_pk_mul_f32 v[0:1], v[8:9], v[92:93] op_sel:[0,1]
	v_mov_b32_e32 v37, v29
	v_pk_fma_f32 v[16:17], v[8:9], v[92:93], v[0:1] op_sel:[0,0,1] op_sel_hi:[1,1,0] neg_lo:[0,0,1] neg_hi:[0,0,1]
	v_pk_fma_f32 v[0:1], v[8:9], v[92:93], v[0:1] op_sel:[0,0,1] op_sel_hi:[1,0,0]
	v_pk_add_f32 v[2:3], v[4:5], v[36:37] neg_lo:[0,1] neg_hi:[0,1]
	v_mov_b32_e32 v17, v1
	v_pk_add_f32 v[0:1], v[12:13], v[16:17] neg_lo:[0,1] neg_hi:[0,1]
	s_nop 0
	v_pk_fma_f32 v[8:9], v[12:13], 2.0, v[0:1] op_sel_hi:[1,0,1] neg_lo:[0,0,1] neg_hi:[0,0,1]
	ds_write2_b64 v194, v[8:9], v[0:1] offset1:13
	v_mul_u32_u24_e32 v0, 26, v43
	v_add_u32_sdwa v0, v0, v44 dst_sel:DWORD dst_unused:UNUSED_PAD src0_sel:DWORD src1_sel:BYTE_0
	v_lshl_add_u32 v195, v0, 3, v188
	s_waitcnt vmcnt(0)
	v_pk_mul_f32 v[0:1], v[10:11], v[94:95] op_sel:[0,1]
	s_nop 0
	v_pk_fma_f32 v[8:9], v[10:11], v[94:95], v[0:1] op_sel:[0,0,1] op_sel_hi:[1,1,0] neg_lo:[0,0,1] neg_hi:[0,0,1]
	v_pk_fma_f32 v[0:1], v[10:11], v[94:95], v[0:1] op_sel:[0,0,1] op_sel_hi:[1,0,0]
	s_nop 0
	v_mov_b32_e32 v9, v1
	v_pk_add_f32 v[0:1], v[14:15], v[8:9] neg_lo:[0,1] neg_hi:[0,1]
	s_nop 0
	v_pk_fma_f32 v[8:9], v[14:15], 2.0, v[0:1] op_sel_hi:[1,0,1] neg_lo:[0,0,1] neg_hi:[0,0,1]
	ds_write2_b64 v195, v[8:9], v[0:1] offset1:13
	s_and_saveexec_b64 s[0:1], vcc
	s_cbranch_execz .LBB0_5
; %bb.4:
	v_lshl_add_u32 v6, v7, 3, v188
	v_pk_fma_f32 v[0:1], v[4:5], 2.0, v[2:3] op_sel_hi:[1,0,1] neg_lo:[0,0,1] neg_hi:[0,0,1]
	v_add_u32_e32 v4, 0x800, v6
	ds_write2_b64 v4, v[0:1], v[2:3] offset0:56 offset1:69
.LBB0_5:
	s_or_b64 exec, exec, s[0:1]
	s_movk_i32 s0, 0x60
	v_mov_b64_e32 v[0:1], s[10:11]
	v_mad_u64_u32 v[0:1], s[0:1], v52, s0, v[0:1]
	s_waitcnt lgkmcnt(0)
	; wave barrier
	s_waitcnt lgkmcnt(0)
	global_load_dwordx4 v[12:15], v[0:1], off offset:152
	global_load_dwordx4 v[16:19], v[0:1], off offset:136
	;; [unrolled: 1-line block ×6, first 2 shown]
	ds_read2_b64 v[36:39], v65 offset0:104 offset1:130
	ds_read2_b64 v[28:31], v65 offset1:26
	ds_read2_b64 v[40:43], v65 offset0:52 offset1:78
	ds_read2_b64 v[44:47], v65 offset0:156 offset1:182
	ds_read2_b64 v[48:51], v65 offset0:208 offset1:234
	v_add_u32_e32 v97, 0x800, v65
	ds_read_b64 v[0:1], v65 offset:2496
	ds_read2_b64 v[106:109], v97 offset0:4 offset1:30
	s_waitcnt lgkmcnt(5)
	v_mov_b32_e32 v110, v31
	s_waitcnt lgkmcnt(4)
	v_mov_b32_e32 v112, v41
	v_mov_b32_e32 v114, v43
	s_mov_b32 s22, 0xbeedf032
	s_mov_b32 s23, 0x3f62ad3f
	;; [unrolled: 1-line block ×42, first 2 shown]
	s_add_u32 s8, s8, 0xa90
	s_addc_u32 s9, s9, 0
	s_waitcnt vmcnt(5)
	v_mov_b32_e32 v98, v15
	s_waitcnt vmcnt(4)
	v_mov_b32_e32 v102, v19
	;; [unrolled: 2-line block ×4, first 2 shown]
	v_pk_mul_f32 v[118:119], v[40:41], v[10:11]
	v_pk_mul_f32 v[100:101], v[30:31], v[8:9]
	v_mov_b32_e32 v118, v11
	v_pk_mul_f32 v[120:121], v[42:43], v[4:5]
	s_waitcnt vmcnt(1)
	v_mov_b32_e32 v96, v23
	v_pk_mul_f32 v[122:123], v[38:39], v[16:17] op_sel:[0,1]
	s_waitcnt lgkmcnt(0)
	v_pk_mul_f32 v[128:129], v[108:109], v[20:21] op_sel:[0,1]
	v_pk_mul_f32 v[116:117], v[30:31], v[116:117]
	v_mov_b32_e32 v120, v5
	v_mov_b32_e32 v130, v101
	;; [unrolled: 1-line block ×3, first 2 shown]
	v_pk_mul_f32 v[118:119], v[40:41], v[118:119]
	v_pk_mul_f32 v[136:137], v[36:37], v[104:105] op_sel_hi:[1,0]
	v_pk_fma_f32 v[138:139], v[38:39], v[16:17], v[122:123] op_sel:[0,0,1] op_sel_hi:[1,1,0] neg_lo:[0,0,1] neg_hi:[0,0,1]
	v_pk_fma_f32 v[38:39], v[38:39], v[16:17], v[122:123] op_sel:[0,0,1] op_sel_hi:[1,0,0]
	v_pk_mul_f32 v[122:123], v[44:45], v[102:103] op_sel_hi:[1,0]
	v_pk_fma_f32 v[146:147], v[108:109], v[20:21], v[128:129] op_sel:[0,0,1] op_sel_hi:[1,0,0] neg_lo:[0,0,1] neg_hi:[0,0,1]
	v_pk_fma_f32 v[108:109], v[108:109], v[20:21], v[128:129] op_sel:[0,0,1] op_sel_hi:[1,0,0]
	v_pk_mul_f32 v[128:129], v[0:1], v[96:97] op_sel_hi:[1,0]
	v_pk_fma_f32 v[110:111], v[110:111], v[8:9], v[116:117]
	s_waitcnt vmcnt(0)
	v_mov_b32_e32 v100, v27
	v_pk_mul_f32 v[124:125], v[46:47], v[12:13] op_sel:[0,1]
	v_pk_mul_f32 v[126:127], v[50:51], v[24:25] op_sel:[0,1]
	v_mov_b32_e32 v134, v121
	v_pk_mul_f32 v[120:121], v[42:43], v[120:121]
	v_pk_fma_f32 v[116:117], v[30:31], v[8:9], v[130:131] neg_lo:[0,0,1] neg_hi:[0,0,1]
	v_pk_fma_f32 v[112:113], v[112:113], v[10:11], v[118:119]
	v_pk_fma_f32 v[118:119], v[36:37], v[6:7], v[136:137] op_sel:[0,0,1] op_sel_hi:[1,1,0] neg_lo:[0,0,1] neg_hi:[0,0,1]
	v_pk_fma_f32 v[30:31], v[36:37], v[6:7], v[136:137] op_sel:[0,0,1] op_sel_hi:[1,0,0]
	v_mov_b32_e32 v139, v39
	v_pk_fma_f32 v[38:39], v[44:45], v[18:19], v[122:123] op_sel:[0,0,1] op_sel_hi:[1,1,0] neg_lo:[0,0,1] neg_hi:[0,0,1]
	v_pk_fma_f32 v[36:37], v[44:45], v[18:19], v[122:123] op_sel:[0,0,1] op_sel_hi:[1,0,0]
	v_pk_fma_f32 v[122:123], v[0:1], v[22:23], v[128:129] op_sel:[0,0,1] op_sel_hi:[1,0,0]
	v_mov_b32_e32 v7, v110
	v_pk_fma_f32 v[148:149], v[46:47], v[12:13], v[124:125] op_sel:[0,0,1] op_sel_hi:[1,1,0] neg_lo:[0,0,1] neg_hi:[0,0,1]
	v_pk_fma_f32 v[46:47], v[46:47], v[12:13], v[124:125] op_sel:[0,0,1] op_sel_hi:[1,0,0]
	v_pk_mul_f32 v[124:125], v[48:49], v[98:99] op_sel_hi:[1,0]
	v_pk_fma_f32 v[150:151], v[50:51], v[24:25], v[126:127] op_sel:[0,0,1] op_sel_hi:[1,1,0] neg_lo:[0,0,1] neg_hi:[0,0,1]
	v_pk_fma_f32 v[50:51], v[50:51], v[24:25], v[126:127] op_sel:[0,0,1] op_sel_hi:[1,0,0]
	v_pk_mul_f32 v[126:127], v[106:107], v[100:101] op_sel_hi:[1,0]
	v_pk_fma_f32 v[114:115], v[114:115], v[4:5], v[120:121]
	v_pk_fma_f32 v[120:121], v[0:1], v[22:23], v[128:129] op_sel:[0,0,1] op_sel_hi:[1,0,0] neg_lo:[0,0,1] neg_hi:[0,0,1]
	v_pk_add_f32 v[0:1], v[6:7], v[122:123]
	v_pk_fma_f32 v[40:41], v[40:41], v[10:11], v[132:133] neg_lo:[0,0,1] neg_hi:[0,0,1]
	v_pk_fma_f32 v[42:43], v[42:43], v[4:5], v[134:135] neg_lo:[0,0,1] neg_hi:[0,0,1]
	v_mov_b32_e32 v149, v47
	v_pk_fma_f32 v[44:45], v[48:49], v[14:15], v[124:125] op_sel:[0,0,1] op_sel_hi:[1,1,0] neg_lo:[0,0,1] neg_hi:[0,0,1]
	v_pk_fma_f32 v[46:47], v[48:49], v[14:15], v[124:125] op_sel:[0,0,1] op_sel_hi:[1,0,0]
	v_pk_fma_f32 v[48:49], v[106:107], v[26:27], v[126:127] op_sel:[0,0,1] op_sel_hi:[1,0,0] neg_lo:[0,0,1] neg_hi:[0,0,1]
	v_mov_b32_e32 v0, v123
	v_mov_b32_e32 v46, v48
	;; [unrolled: 1-line block ×4, first 2 shown]
	v_pk_add_f32 v[144:145], v[110:111], v[0:1] neg_lo:[0,1] neg_hi:[0,1]
	v_pk_add_f32 v[142:143], v[40:41], v[146:147]
	v_pk_add_f32 v[110:111], v[40:41], v[146:147] neg_lo:[0,1] neg_hi:[0,1]
	v_pk_add_f32 v[128:129], v[42:43], v[48:49]
	;; [unrolled: 2-line block ×3, first 2 shown]
	v_pk_add_f32 v[42:43], v[28:29], v[6:7]
	v_mov_b32_e32 v131, v112
	v_mov_b32_e32 v41, v43
	v_mov_b32_e32 v137, v114
	v_pk_add_f32 v[40:41], v[40:41], v[130:131]
	v_mov_b32_e32 v119, v31
	v_pk_add_f32 v[40:41], v[40:41], v[136:137]
	v_mov_b32_e32 v39, v37
	;; [unrolled: 2-line block ×3, first 2 shown]
	v_pk_add_f32 v[40:41], v[40:41], v[138:139]
	v_pk_add_f32 v[122:123], v[38:39], v[148:149]
	v_pk_add_f32 v[152:153], v[38:39], v[148:149] neg_lo:[0,1] neg_hi:[0,1]
	v_pk_add_f32 v[38:39], v[40:41], v[38:39]
	v_mov_b32_e32 v45, v47
	v_pk_add_f32 v[38:39], v[38:39], v[148:149]
	v_mov_b32_e32 v151, v51
	v_pk_fma_f32 v[50:51], v[106:107], v[26:27], v[126:127] op_sel:[0,0,1] op_sel_hi:[1,0,0]
	v_pk_add_f32 v[38:39], v[38:39], v[44:45]
	v_mov_b32_e32 v47, v51
	v_mov_b32_e32 v124, v120
	v_pk_add_f32 v[140:141], v[116:117], v[120:121]
	v_pk_add_f32 v[120:121], v[116:117], v[120:121] neg_lo:[0,1] neg_hi:[0,1]
	v_mov_b32_e32 v0, v109
	v_pk_add_f32 v[38:39], v[38:39], v[150:151]
	v_mov_b32_e32 v106, v146
	v_mov_b32_e32 v107, v109
	v_pk_add_f32 v[146:147], v[112:113], v[0:1] neg_lo:[0,1] neg_hi:[0,1]
	v_mov_b32_e32 v0, v51
	v_pk_add_f32 v[38:39], v[38:39], v[46:47]
	v_mov_b32_e32 v141, v120
	v_mov_b32_e32 v15, v112
	v_pk_add_f32 v[134:135], v[114:115], v[0:1] neg_lo:[0,1] neg_hi:[0,1]
	v_pk_add_f32 v[38:39], v[38:39], v[106:107]
	v_mov_b32_e32 v0, v144
	v_pk_mul_f32 v[40:41], v[140:141], s[30:31]
	v_pk_add_f32 v[30:31], v[14:15], v[108:109]
	v_pk_add_f32 v[124:125], v[38:39], v[124:125]
	v_pk_fma_f32 v[42:43], v[144:145], s[22:23], v[40:41] neg_lo:[1,0,0] neg_hi:[1,0,0]
	v_pk_fma_f32 v[38:39], v[0:1], s[22:23], v[40:41]
	v_mov_b32_e32 v143, v110
	v_mov_b32_e32 v15, v114
	v_pk_add_f32 v[126:127], v[138:139], v[44:45]
	v_pk_add_f32 v[112:113], v[138:139], v[44:45] neg_lo:[0,1] neg_hi:[0,1]
	v_mov_b32_e32 v43, v39
	v_mov_b32_e32 v30, v146
	v_pk_mul_f32 v[44:45], v[142:143], s[34:35]
	v_pk_add_f32 v[36:37], v[14:15], v[50:51]
	v_pk_add_f32 v[46:47], v[28:29], v[42:43]
	v_pk_fma_f32 v[50:51], v[146:147], s[10:11], v[44:45] neg_lo:[1,0,0] neg_hi:[1,0,0]
	v_pk_fma_f32 v[42:43], v[30:31], s[10:11], v[44:45]
	v_mov_b32_e32 v129, v48
	v_mov_b32_e32 v51, v43
	;; [unrolled: 1-line block ×3, first 2 shown]
	v_pk_mul_f32 v[48:49], v[128:129], s[36:37]
	v_pk_add_f32 v[50:51], v[50:51], v[46:47]
	v_pk_fma_f32 v[106:107], v[134:135], s[16:17], v[48:49] neg_lo:[1,0,0] neg_hi:[1,0,0]
	v_pk_fma_f32 v[46:47], v[36:37], s[16:17], v[48:49]
	v_pk_add_f32 v[132:133], v[118:119], v[150:151]
	v_pk_add_f32 v[108:109], v[118:119], v[150:151] neg_lo:[0,1] neg_hi:[0,1]
	v_mov_b32_e32 v107, v47
	v_pk_add_f32 v[110:111], v[106:107], v[50:51]
	v_mov_b32_e32 v51, v133
	v_mov_b32_e32 v133, v108
	v_mov_b32_e32 v50, v109
	v_pk_mul_f32 v[108:109], v[132:133], s[38:39]
	v_pk_mul_f32 v[138:139], v[142:143], s[38:39]
	v_pk_fma_f32 v[114:115], v[50:51], s[0:1], v[108:109] neg_lo:[1,0,0] neg_hi:[1,0,0]
	v_pk_fma_f32 v[106:107], v[50:51], s[0:1], v[108:109]
	v_pk_fma_f32 v[150:151], v[146:147], s[0:1], v[138:139] neg_lo:[1,0,0] neg_hi:[1,0,0]
	v_mov_b32_e32 v115, v107
	v_pk_add_f32 v[116:117], v[114:115], v[110:111]
	v_mov_b32_e32 v111, v127
	v_mov_b32_e32 v127, v112
	v_mov_b32_e32 v110, v113
	v_pk_mul_f32 v[114:115], v[126:127], s[40:41]
	v_pk_mul_f32 v[156:157], v[132:133], s[26:27]
	v_pk_fma_f32 v[118:119], v[110:111], s[12:13], v[114:115] neg_lo:[1,0,0] neg_hi:[1,0,0]
	v_pk_fma_f32 v[112:113], v[110:111], s[12:13], v[114:115]
	v_pk_fma_f32 v[158:159], v[50:51], s[24:25], v[156:157] neg_lo:[1,0,0] neg_hi:[1,0,0]
	;; [unrolled: 10-line block ×3, first 2 shown]
	v_mov_b32_e32 v137, v119
	v_pk_add_f32 v[130:131], v[136:137], v[130:131]
	v_pk_mul_f32 v[136:137], v[140:141], s[34:35]
	ds_write2_b64 v65, v[124:125], v[130:131] offset1:26
	v_pk_fma_f32 v[148:149], v[144:145], s[10:11], v[136:137] neg_lo:[1,0,0] neg_hi:[1,0,0]
	v_pk_fma_f32 v[124:125], v[0:1], s[10:11], v[136:137]
	v_pk_fma_f32 v[130:131], v[30:31], s[0:1], v[138:139]
	v_mov_b32_e32 v149, v125
	v_mov_b32_e32 v151, v131
	v_pk_add_f32 v[148:149], v[28:29], v[148:149]
	v_pk_mul_f32 v[168:169], v[140:141], s[36:37]
	v_pk_add_f32 v[150:151], v[150:151], v[148:149]
	v_pk_fma_f32 v[148:149], v[36:37], s[14:15], v[152:153]
	v_pk_fma_f32 v[172:173], v[144:145], s[16:17], v[168:169] neg_lo:[1,0,0] neg_hi:[1,0,0]
	v_mov_b32_e32 v155, v149
	v_pk_add_f32 v[154:155], v[154:155], v[150:151]
	v_pk_fma_f32 v[150:151], v[50:51], s[24:25], v[156:157]
	v_pk_mul_f32 v[170:171], v[142:143], s[42:43]
	v_mov_b32_e32 v159, v151
	v_pk_add_f32 v[160:161], v[158:159], v[154:155]
	v_pk_mul_f32 v[158:159], v[126:127], s[46:47]
	v_pk_fma_f32 v[174:175], v[146:147], s[14:15], v[170:171] neg_lo:[1,0,0] neg_hi:[1,0,0]
	v_pk_fma_f32 v[162:163], v[110:111], s[18:19], v[158:159] neg_lo:[1,0,0] neg_hi:[1,0,0]
	v_pk_fma_f32 v[154:155], v[110:111], s[18:19], v[158:159]
	v_pk_mul_f32 v[178:179], v[128:129], s[28:29]
	v_mov_b32_e32 v163, v155
	v_pk_add_f32 v[164:165], v[162:163], v[160:161]
	v_pk_mul_f32 v[162:163], v[122:123], s[48:49]
	v_pk_fma_f32 v[176:177], v[134:135], s[44:45], v[178:179] neg_lo:[1,0,0] neg_hi:[1,0,0]
	v_pk_fma_f32 v[166:167], v[116:117], s[20:21], v[162:163] neg_lo:[1,0,0] neg_hi:[1,0,0]
	v_pk_fma_f32 v[160:161], v[116:117], s[20:21], v[162:163]
	v_pk_mul_f32 v[182:183], v[132:133], s[48:49]
	v_mov_b32_e32 v167, v161
	v_pk_add_f32 v[196:197], v[166:167], v[164:165]
	v_pk_fma_f32 v[164:165], v[0:1], s[16:17], v[168:169]
	v_pk_fma_f32 v[166:167], v[30:31], s[14:15], v[170:171]
	v_mov_b32_e32 v173, v165
	v_mov_b32_e32 v175, v167
	v_pk_add_f32 v[172:173], v[28:29], v[172:173]
	v_pk_fma_f32 v[180:181], v[50:51], s[20:21], v[182:183] neg_lo:[1,0,0] neg_hi:[1,0,0]
	v_pk_add_f32 v[174:175], v[174:175], v[172:173]
	v_pk_fma_f32 v[172:173], v[36:37], s[44:45], v[178:179]
	v_pk_mul_f32 v[184:185], v[126:127], s[34:35]
	v_mov_b32_e32 v177, v173
	v_pk_add_f32 v[176:177], v[176:177], v[174:175]
	v_pk_fma_f32 v[174:175], v[50:51], s[20:21], v[182:183]
	v_pk_fma_f32 v[186:187], v[110:111], s[10:11], v[184:185] neg_lo:[1,0,0] neg_hi:[1,0,0]
	v_mov_b32_e32 v181, v175
	v_pk_add_f32 v[180:181], v[180:181], v[176:177]
	v_pk_fma_f32 v[176:177], v[110:111], s[10:11], v[184:185]
	v_pk_mul_f32 v[202:203], v[142:143], s[26:27]
	v_mov_b32_e32 v187, v177
	v_pk_add_f32 v[198:199], v[186:187], v[180:181]
	v_pk_mul_f32 v[186:187], v[122:123], s[40:41]
	v_pk_fma_f32 v[204:205], v[146:147], s[24:25], v[202:203] neg_lo:[1,0,0] neg_hi:[1,0,0]
	v_pk_fma_f32 v[200:201], v[116:117], s[12:13], v[186:187] neg_lo:[1,0,0] neg_hi:[1,0,0]
	v_pk_fma_f32 v[180:181], v[116:117], s[12:13], v[186:187]
	v_pk_fma_f32 v[206:207], v[30:31], s[24:25], v[202:203]
	v_mov_b32_e32 v201, v181
	v_pk_add_f32 v[198:199], v[200:201], v[198:199]
	ds_write2_b64 v65, v[196:197], v[198:199] offset0:52 offset1:78
	v_pk_mul_f32 v[196:197], v[140:141], s[38:39]
	v_mov_b32_e32 v205, v207
	v_pk_fma_f32 v[198:199], v[144:145], s[0:1], v[196:197] neg_lo:[1,0,0] neg_hi:[1,0,0]
	v_pk_fma_f32 v[200:201], v[0:1], s[0:1], v[196:197]
	s_mov_b32 s28, 0x3e750f2a
	v_mov_b32_e32 v199, v201
	v_pk_add_f32 v[198:199], v[28:29], v[198:199]
	s_mov_b32 s51, s28
	v_pk_add_f32 v[198:199], v[204:205], v[198:199]
	v_pk_mul_f32 v[204:205], v[128:129], s[48:49]
	s_mov_b32 s29, s15
	v_pk_fma_f32 v[208:209], v[134:135], s[20:21], v[204:205] neg_lo:[1,0,0] neg_hi:[1,0,0]
	v_pk_fma_f32 v[210:211], v[36:37], s[20:21], v[204:205]
	s_mov_b32 s26, 0x3f52af12
	v_mov_b32_e32 v209, v211
	v_pk_add_f32 v[198:199], v[208:209], v[198:199]
	v_pk_mul_f32 v[208:209], v[132:133], s[36:37]
	s_mov_b32 s53, s26
	v_pk_fma_f32 v[212:213], v[50:51], s[16:17], v[208:209] neg_lo:[1,0,0] neg_hi:[1,0,0]
	v_pk_fma_f32 v[214:215], v[50:51], s[16:17], v[208:209]
	s_mov_b32 s27, s11
	v_mov_b32_e32 v213, v215
	v_pk_add_f32 v[198:199], v[212:213], v[198:199]
	v_pk_mul_f32 v[212:213], v[126:127], s[50:51]
	v_pk_mul_f32 v[228:229], v[142:143], s[46:47]
	v_pk_fma_f32 v[216:217], v[110:111], s[28:29], v[212:213] neg_lo:[1,0,0] neg_hi:[1,0,0]
	v_pk_fma_f32 v[218:219], v[110:111], s[28:29], v[212:213]
	v_pk_fma_f32 v[230:231], v[146:147], s[18:19], v[228:229] neg_lo:[1,0,0] neg_hi:[1,0,0]
	v_mov_b32_e32 v217, v219
	v_pk_add_f32 v[198:199], v[216:217], v[198:199]
	v_pk_mul_f32 v[216:217], v[122:123], s[52:53]
	v_pk_fma_f32 v[232:233], v[30:31], s[18:19], v[228:229]
	v_pk_fma_f32 v[220:221], v[116:117], s[26:27], v[216:217] neg_lo:[1,0,0] neg_hi:[1,0,0]
	v_pk_fma_f32 v[222:223], v[116:117], s[26:27], v[216:217]
	v_mov_b32_e32 v231, v233
	v_mov_b32_e32 v221, v223
	v_pk_add_f32 v[198:199], v[220:221], v[198:199]
	v_pk_mul_f32 v[220:221], v[140:141], s[40:41]
	v_pk_mul_f32 v[140:141], v[140:141], s[42:43]
	v_pk_fma_f32 v[224:225], v[144:145], s[12:13], v[220:221] neg_lo:[1,0,0] neg_hi:[1,0,0]
	v_pk_fma_f32 v[226:227], v[0:1], s[12:13], v[220:221]
	v_pk_fma_f32 v[144:145], v[144:145], s[14:15], v[140:141] neg_lo:[1,0,0] neg_hi:[1,0,0]
	v_mov_b32_e32 v225, v227
	v_pk_add_f32 v[224:225], v[28:29], v[224:225]
	v_pk_mul_f32 v[142:143], v[142:143], s[48:49]
	v_pk_add_f32 v[224:225], v[230:231], v[224:225]
	v_pk_mul_f32 v[230:231], v[128:129], s[34:35]
	v_pk_fma_f32 v[146:147], v[146:147], s[20:21], v[142:143] neg_lo:[1,0,0] neg_hi:[1,0,0]
	v_pk_fma_f32 v[234:235], v[134:135], s[10:11], v[230:231] neg_lo:[1,0,0] neg_hi:[1,0,0]
	v_pk_fma_f32 v[236:237], v[36:37], s[10:11], v[230:231]
	v_pk_mul_f32 v[128:129], v[128:129], s[40:41]
	v_mov_b32_e32 v235, v237
	v_pk_add_f32 v[224:225], v[234:235], v[224:225]
	v_pk_mul_f32 v[234:235], v[132:133], s[50:51]
	v_pk_fma_f32 v[134:135], v[134:135], s[12:13], v[128:129] neg_lo:[1,0,0] neg_hi:[1,0,0]
	v_pk_fma_f32 v[238:239], v[50:51], s[28:29], v[234:235] neg_lo:[1,0,0] neg_hi:[1,0,0]
	v_pk_fma_f32 v[240:241], v[50:51], s[28:29], v[234:235]
	v_pk_mul_f32 v[132:133], v[132:133], s[52:53]
	v_mov_b32_e32 v239, v241
	v_pk_add_f32 v[224:225], v[238:239], v[224:225]
	v_pk_mul_f32 v[238:239], v[126:127], s[48:49]
	v_pk_mul_f32 v[126:127], v[126:127], s[38:39]
	v_pk_fma_f32 v[242:243], v[110:111], s[20:21], v[238:239] neg_lo:[1,0,0] neg_hi:[1,0,0]
	v_pk_fma_f32 v[244:245], v[110:111], s[20:21], v[238:239]
	v_pk_fma_f32 v[250:251], v[110:111], s[0:1], v[126:127]
	v_mov_b32_e32 v243, v245
	v_pk_add_f32 v[224:225], v[242:243], v[224:225]
	v_pk_mul_f32 v[242:243], v[122:123], s[38:39]
	v_pk_mul_f32 v[122:123], v[122:123], s[46:47]
	v_pk_fma_f32 v[246:247], v[116:117], s[0:1], v[242:243] neg_lo:[1,0,0] neg_hi:[1,0,0]
	v_pk_fma_f32 v[248:249], v[116:117], s[0:1], v[242:243]
	v_pk_fma_f32 v[252:253], v[116:117], s[18:19], v[122:123]
	v_mov_b32_e32 v247, v249
	v_pk_add_f32 v[224:225], v[246:247], v[224:225]
	ds_write2_b64 v65, v[198:199], v[224:225] offset0:104 offset1:130
	v_pk_fma_f32 v[198:199], v[0:1], s[14:15], v[140:141]
	v_pk_fma_f32 v[224:225], v[30:31], s[20:21], v[142:143]
	v_mov_b32_e32 v145, v199
	v_mov_b32_e32 v147, v225
	v_pk_add_f32 v[144:145], v[28:29], v[144:145]
	v_pk_fma_f32 v[246:247], v[50:51], s[26:27], v[132:133]
	v_pk_add_f32 v[144:145], v[146:147], v[144:145]
	v_pk_fma_f32 v[146:147], v[36:37], s[12:13], v[128:129]
	v_pk_fma_f32 v[140:141], v[0:1], s[14:15], v[140:141] neg_lo:[0,0,1] neg_hi:[0,0,1]
	v_mov_b32_e32 v135, v147
	v_pk_add_f32 v[134:135], v[134:135], v[144:145]
	v_pk_fma_f32 v[144:145], v[50:51], s[26:27], v[132:133] neg_lo:[1,0,0] neg_hi:[1,0,0]
	v_mov_b32_e32 v199, v141
	v_mov_b32_e32 v145, v247
	v_pk_add_f32 v[134:135], v[144:145], v[134:135]
	v_pk_fma_f32 v[144:145], v[110:111], s[0:1], v[126:127] neg_lo:[1,0,0] neg_hi:[1,0,0]
	v_pk_fma_f32 v[140:141], v[30:31], s[20:21], v[142:143] neg_lo:[0,0,1] neg_hi:[0,0,1]
	v_mov_b32_e32 v145, v251
	v_pk_add_f32 v[134:135], v[144:145], v[134:135]
	v_pk_fma_f32 v[144:145], v[116:117], s[18:19], v[122:123] neg_lo:[1,0,0] neg_hi:[1,0,0]
	v_pk_fma_f32 v[122:123], v[116:117], s[18:19], v[122:123] neg_lo:[0,0,1] neg_hi:[0,0,1]
	v_mov_b32_e32 v145, v253
	v_mov_b32_e32 v225, v141
	v_pk_fma_f32 v[128:129], v[36:37], s[12:13], v[128:129] neg_lo:[0,0,1] neg_hi:[0,0,1]
	v_mov_b32_e32 v253, v123
	v_pk_add_f32 v[122:123], v[28:29], v[198:199]
	v_mov_b32_e32 v147, v129
	v_pk_fma_f32 v[128:129], v[50:51], s[26:27], v[132:133] neg_lo:[0,0,1] neg_hi:[0,0,1]
	v_pk_add_f32 v[122:123], v[224:225], v[122:123]
	v_mov_b32_e32 v247, v129
	v_pk_fma_f32 v[126:127], v[110:111], s[0:1], v[126:127] neg_lo:[0,0,1] neg_hi:[0,0,1]
	v_pk_add_f32 v[122:123], v[146:147], v[122:123]
	v_mov_b32_e32 v251, v127
	v_pk_add_f32 v[122:123], v[246:247], v[122:123]
	v_pk_add_f32 v[134:135], v[144:145], v[134:135]
	;; [unrolled: 1-line block ×3, first 2 shown]
	v_pk_fma_f32 v[126:127], v[0:1], s[0:1], v[196:197] neg_lo:[0,0,1] neg_hi:[0,0,1]
	v_pk_add_f32 v[122:123], v[252:253], v[122:123]
	ds_write2_b64 v65, v[134:135], v[122:123] offset0:156 offset1:182
	v_pk_fma_f32 v[122:123], v[0:1], s[12:13], v[220:221] neg_lo:[0,0,1] neg_hi:[0,0,1]
	v_mov_b32_e32 v201, v127
	v_mov_b32_e32 v227, v123
	v_pk_fma_f32 v[122:123], v[30:31], s[18:19], v[228:229] neg_lo:[0,0,1] neg_hi:[0,0,1]
	v_pk_fma_f32 v[126:127], v[30:31], s[24:25], v[202:203] neg_lo:[0,0,1] neg_hi:[0,0,1]
	v_mov_b32_e32 v233, v123
	v_pk_fma_f32 v[122:123], v[36:37], s[10:11], v[230:231] neg_lo:[0,0,1] neg_hi:[0,0,1]
	v_mov_b32_e32 v207, v127
	;; [unrolled: 2-line block ×9, first 2 shown]
	v_pk_add_f32 v[122:123], v[28:29], v[226:227]
	v_mov_b32_e32 v223, v127
	v_pk_add_f32 v[126:127], v[28:29], v[200:201]
	v_pk_add_f32 v[122:123], v[232:233], v[122:123]
	;; [unrolled: 1-line block ×11, first 2 shown]
	ds_write2_b64 v65, v[122:123], v[126:127] offset0:208 offset1:234
	v_pk_fma_f32 v[122:123], v[0:1], s[16:17], v[168:169] neg_lo:[0,0,1] neg_hi:[0,0,1]
	v_pk_fma_f32 v[126:127], v[0:1], s[10:11], v[136:137] neg_lo:[0,0,1] neg_hi:[0,0,1]
	v_mov_b32_e32 v165, v123
	v_pk_fma_f32 v[122:123], v[30:31], s[14:15], v[170:171] neg_lo:[0,0,1] neg_hi:[0,0,1]
	v_pk_fma_f32 v[0:1], v[0:1], s[22:23], v[40:41] neg_lo:[0,0,1] neg_hi:[0,0,1]
	v_mov_b32_e32 v167, v123
	v_pk_fma_f32 v[122:123], v[36:37], s[44:45], v[178:179] neg_lo:[0,0,1] neg_hi:[0,0,1]
	v_mov_b32_e32 v125, v127
	v_mov_b32_e32 v173, v123
	v_pk_fma_f32 v[122:123], v[50:51], s[20:21], v[182:183] neg_lo:[0,0,1] neg_hi:[0,0,1]
	v_mov_b32_e32 v39, v1
	v_mov_b32_e32 v175, v123
	v_pk_fma_f32 v[122:123], v[110:111], s[10:11], v[184:185] neg_lo:[0,0,1] neg_hi:[0,0,1]
	v_pk_fma_f32 v[126:127], v[30:31], s[0:1], v[138:139] neg_lo:[0,0,1] neg_hi:[0,0,1]
	v_mov_b32_e32 v177, v123
	v_pk_fma_f32 v[122:123], v[116:117], s[12:13], v[186:187] neg_lo:[0,0,1] neg_hi:[0,0,1]
	v_pk_add_f32 v[124:125], v[28:29], v[124:125]
	v_mov_b32_e32 v181, v123
	v_pk_add_f32 v[122:123], v[28:29], v[164:165]
	v_pk_add_f32 v[0:1], v[28:29], v[38:39]
	v_pk_fma_f32 v[28:29], v[30:31], s[10:11], v[44:45] neg_lo:[0,0,1] neg_hi:[0,0,1]
	v_mov_b32_e32 v131, v127
	v_pk_fma_f32 v[126:127], v[36:37], s[14:15], v[152:153] neg_lo:[0,0,1] neg_hi:[0,0,1]
	v_mov_b32_e32 v43, v29
	v_pk_fma_f32 v[28:29], v[36:37], s[16:17], v[48:49] neg_lo:[0,0,1] neg_hi:[0,0,1]
	v_pk_add_f32 v[122:123], v[166:167], v[122:123]
	v_mov_b32_e32 v149, v127
	v_pk_fma_f32 v[126:127], v[50:51], s[24:25], v[156:157] neg_lo:[0,0,1] neg_hi:[0,0,1]
	v_pk_add_f32 v[124:125], v[130:131], v[124:125]
	v_pk_add_f32 v[0:1], v[42:43], v[0:1]
	v_mov_b32_e32 v47, v29
	v_pk_fma_f32 v[28:29], v[50:51], s[0:1], v[108:109] neg_lo:[0,0,1] neg_hi:[0,0,1]
	v_pk_add_f32 v[122:123], v[172:173], v[122:123]
	v_mov_b32_e32 v151, v127
	v_pk_fma_f32 v[126:127], v[110:111], s[18:19], v[158:159] neg_lo:[0,0,1] neg_hi:[0,0,1]
	v_pk_add_f32 v[124:125], v[148:149], v[124:125]
	v_pk_add_f32 v[0:1], v[46:47], v[0:1]
	;; [unrolled: 7-line block ×3, first 2 shown]
	v_mov_b32_e32 v113, v29
	v_pk_fma_f32 v[28:29], v[116:117], s[14:15], v[120:121] neg_lo:[0,0,1] neg_hi:[0,0,1]
	v_pk_add_f32 v[122:123], v[176:177], v[122:123]
	v_mov_b32_e32 v161, v127
	v_pk_add_f32 v[124:125], v[154:155], v[124:125]
	v_pk_add_f32 v[0:1], v[112:113], v[0:1]
	v_mov_b32_e32 v119, v29
	v_pk_add_f32 v[122:123], v[180:181], v[122:123]
	v_pk_add_f32 v[124:125], v[160:161], v[124:125]
	v_pk_add_f32 v[0:1], v[118:119], v[0:1]
	ds_write2_b64 v97, v[122:123], v[124:125] offset0:4 offset1:30
	ds_write_b64 v65, v[0:1] offset:2496
	s_waitcnt lgkmcnt(0)
	; wave barrier
	s_waitcnt lgkmcnt(0)
	global_load_dwordx2 v[0:1], v[34:35], off offset:2704
	global_load_dwordx2 v[36:37], v32, s[8:9] offset:208
	global_load_dwordx2 v[38:39], v32, s[8:9] offset:416
	;; [unrolled: 1-line block ×12, first 2 shown]
	ds_read2_b64 v[28:31], v65 offset1:26
	ds_read2_b64 v[32:35], v65 offset0:52 offset1:78
	s_mov_b32 s8, s11
	s_waitcnt vmcnt(12) lgkmcnt(1)
	v_mul_f32_e32 v7, v29, v1
	v_mul_f32_e32 v115, v28, v1
	v_fma_f32 v114, v28, v0, -v7
	v_fmac_f32_e32 v115, v29, v0
	s_waitcnt vmcnt(11)
	v_mul_f32_e32 v0, v31, v37
	v_mul_f32_e32 v1, v30, v37
	v_fma_f32 v0, v30, v36, -v0
	v_fmac_f32_e32 v1, v31, v36
	ds_read2_b64 v[28:31], v65 offset0:104 offset1:130
	ds_write2_b64 v65, v[114:115], v[0:1] offset1:26
	s_waitcnt vmcnt(10) lgkmcnt(2)
	v_mul_f32_e32 v1, v32, v39
	v_mul_f32_e32 v0, v33, v39
	v_fmac_f32_e32 v1, v33, v38
	s_waitcnt vmcnt(9)
	v_mul_f32_e32 v7, v35, v41
	v_mul_f32_e32 v33, v34, v41
	v_fma_f32 v0, v32, v38, -v0
	v_fma_f32 v32, v34, v40, -v7
	v_fmac_f32_e32 v33, v35, v40
	ds_write2_b64 v65, v[0:1], v[32:33] offset0:52 offset1:78
	s_waitcnt vmcnt(8) lgkmcnt(2)
	v_mul_f32_e32 v1, v28, v43
	ds_read2_b64 v[32:35], v65 offset0:156 offset1:182
	v_mul_f32_e32 v0, v29, v43
	v_fmac_f32_e32 v1, v29, v42
	s_waitcnt vmcnt(7)
	v_mul_f32_e32 v7, v31, v45
	v_mul_f32_e32 v29, v30, v45
	v_fma_f32 v0, v28, v42, -v0
	v_fma_f32 v28, v30, v44, -v7
	v_fmac_f32_e32 v29, v31, v44
	ds_write2_b64 v65, v[0:1], v[28:29] offset0:104 offset1:130
	ds_read2_b64 v[28:31], v65 offset0:208 offset1:234
	s_waitcnt vmcnt(6) lgkmcnt(2)
	v_mul_f32_e32 v1, v32, v47
	v_mul_f32_e32 v0, v33, v47
	v_fmac_f32_e32 v1, v33, v46
	s_waitcnt vmcnt(5)
	v_mul_f32_e32 v7, v35, v49
	v_mul_f32_e32 v33, v34, v49
	v_fma_f32 v0, v32, v46, -v0
	v_fma_f32 v32, v34, v48, -v7
	v_fmac_f32_e32 v33, v35, v48
	ds_write2_b64 v65, v[0:1], v[32:33] offset0:156 offset1:182
	s_waitcnt vmcnt(4) lgkmcnt(1)
	v_mul_f32_e32 v1, v28, v51
	v_mul_f32_e32 v0, v29, v51
	v_fmac_f32_e32 v1, v29, v50
	s_waitcnt vmcnt(3)
	v_mul_f32_e32 v7, v31, v107
	ds_read2_b64 v[32:35], v97 offset0:4 offset1:30
	v_mul_f32_e32 v29, v30, v107
	v_fma_f32 v0, v28, v50, -v0
	v_fma_f32 v28, v30, v106, -v7
	v_fmac_f32_e32 v29, v31, v106
	ds_write2_b64 v65, v[0:1], v[28:29] offset0:208 offset1:234
	ds_read_b64 v[28:29], v65 offset:2496
	s_waitcnt vmcnt(2) lgkmcnt(2)
	v_mul_f32_e32 v0, v33, v109
	v_mul_f32_e32 v1, v32, v109
	s_waitcnt vmcnt(1)
	v_mul_f32_e32 v7, v35, v111
	v_mul_f32_e32 v31, v34, v111
	v_fma_f32 v0, v32, v108, -v0
	v_fmac_f32_e32 v1, v33, v108
	v_fma_f32 v30, v34, v110, -v7
	v_fmac_f32_e32 v31, v35, v110
	ds_write2_b64 v97, v[0:1], v[30:31] offset0:4 offset1:30
	s_waitcnt vmcnt(0) lgkmcnt(1)
	v_mul_f32_e32 v0, v29, v113
	v_mul_f32_e32 v1, v28, v113
	v_fma_f32 v0, v28, v112, -v0
	v_fmac_f32_e32 v1, v29, v112
	ds_write_b64 v65, v[0:1] offset:2496
	s_waitcnt lgkmcnt(0)
	; wave barrier
	s_waitcnt lgkmcnt(0)
	ds_read2_b64 v[28:31], v65 offset1:26
	ds_read2_b64 v[32:35], v65 offset0:52 offset1:78
	ds_read2_b64 v[36:39], v65 offset0:104 offset1:130
	ds_read_b64 v[106:107], v65 offset:2496
	ds_read2_b64 v[40:43], v65 offset0:156 offset1:182
	ds_read2_b64 v[44:47], v97 offset0:4 offset1:30
	;; [unrolled: 1-line block ×3, first 2 shown]
	s_waitcnt lgkmcnt(6)
	v_pk_add_f32 v[0:1], v[28:29], v[30:31]
	s_waitcnt lgkmcnt(3)
	v_pk_add_f32 v[108:109], v[106:107], v[30:31]
	v_pk_add_f32 v[0:1], v[0:1], v[32:33]
	v_pk_add_f32 v[110:111], v[30:31], v[106:107] neg_lo:[0,1] neg_hi:[0,1]
	v_pk_add_f32 v[0:1], v[0:1], v[34:35]
	s_waitcnt lgkmcnt(1)
	v_pk_add_f32 v[112:113], v[46:47], v[32:33]
	v_pk_add_f32 v[0:1], v[0:1], v[36:37]
	v_pk_add_f32 v[116:117], v[32:33], v[46:47] neg_lo:[0,1] neg_hi:[0,1]
	v_pk_add_f32 v[0:1], v[0:1], v[38:39]
	v_mov_b32_e32 v132, v111
	v_pk_add_f32 v[0:1], v[0:1], v[40:41]
	v_mov_b32_e32 v133, v109
	;; [unrolled: 2-line block ×3, first 2 shown]
	s_waitcnt lgkmcnt(0)
	v_pk_add_f32 v[0:1], v[0:1], v[48:49]
	v_mov_b32_e32 v33, v116
	v_pk_add_f32 v[0:1], v[0:1], v[50:51]
	v_mov_b32_e32 v138, v117
	;; [unrolled: 2-line block ×4, first 2 shown]
	v_mov_b32_e32 v1, v110
	v_pk_mul_f32 v[134:135], v[0:1], s[30:31]
	v_pk_mul_f32 v[140:141], v[32:33], s[34:35]
	v_pk_fma_f32 v[0:1], v[132:133], s[22:23], v[134:135] neg_lo:[1,0,0] neg_hi:[1,0,0]
	v_pk_fma_f32 v[136:137], v[132:133], s[22:23], v[134:135]
	v_pk_fma_f32 v[32:33], v[138:139], s[10:11], v[140:141] neg_lo:[1,0,0] neg_hi:[1,0,0]
	v_mov_b32_e32 v1, v137
	v_pk_fma_f32 v[142:143], v[138:139], s[10:11], v[140:141]
	v_pk_add_f32 v[118:119], v[44:45], v[34:35]
	v_pk_add_f32 v[122:123], v[34:35], v[44:45] neg_lo:[0,1] neg_hi:[0,1]
	v_pk_add_f32 v[0:1], v[28:29], v[0:1]
	v_mov_b32_e32 v33, v143
	v_pk_add_f32 v[0:1], v[32:33], v[0:1]
	v_mov_b32_e32 v32, v118
	v_mov_b32_e32 v33, v122
	;; [unrolled: 1-line block ×4, first 2 shown]
	v_pk_mul_f32 v[146:147], v[32:33], s[36:37]
	v_pk_add_f32 v[124:125], v[50:51], v[36:37]
	v_pk_fma_f32 v[32:33], v[144:145], s[16:17], v[146:147] neg_lo:[1,0,0] neg_hi:[1,0,0]
	v_pk_fma_f32 v[148:149], v[144:145], s[16:17], v[146:147]
	v_pk_add_f32 v[126:127], v[36:37], v[50:51] neg_lo:[0,1] neg_hi:[0,1]
	v_mov_b32_e32 v33, v149
	v_pk_add_f32 v[0:1], v[32:33], v[0:1]
	v_mov_b32_e32 v32, v124
	v_mov_b32_e32 v33, v126
	;; [unrolled: 1-line block ×4, first 2 shown]
	v_pk_mul_f32 v[152:153], v[32:33], s[38:39]
	v_pk_add_f32 v[128:129], v[48:49], v[38:39]
	v_pk_fma_f32 v[32:33], v[150:151], s[0:1], v[152:153] neg_lo:[1,0,0] neg_hi:[1,0,0]
	v_pk_fma_f32 v[154:155], v[150:151], s[0:1], v[152:153]
	v_pk_add_f32 v[130:131], v[38:39], v[48:49] neg_lo:[0,1] neg_hi:[0,1]
	v_mov_b32_e32 v33, v155
	v_pk_add_f32 v[0:1], v[32:33], v[0:1]
	v_mov_b32_e32 v32, v128
	v_mov_b32_e32 v33, v130
	;; [unrolled: 1-line block ×4, first 2 shown]
	v_pk_mul_f32 v[158:159], v[32:33], s[40:41]
	v_pk_fma_f32 v[132:133], v[132:133], s[22:23], v[134:135] neg_lo:[0,0,1] neg_hi:[0,0,1]
	v_pk_fma_f32 v[32:33], v[156:157], s[12:13], v[158:159] neg_lo:[1,0,0] neg_hi:[1,0,0]
	v_pk_fma_f32 v[160:161], v[156:157], s[12:13], v[158:159]
	v_mov_b32_e32 v137, v133
	v_pk_fma_f32 v[132:133], v[138:139], s[10:11], v[140:141] neg_lo:[0,0,1] neg_hi:[0,0,1]
	v_pk_add_f32 v[114:115], v[42:43], v[40:41]
	v_pk_add_f32 v[120:121], v[40:41], v[42:43] neg_lo:[0,1] neg_hi:[0,1]
	v_mov_b32_e32 v33, v161
	v_mov_b32_e32 v143, v133
	v_pk_add_f32 v[132:133], v[28:29], v[136:137]
	v_pk_fma_f32 v[134:135], v[144:145], s[16:17], v[146:147] neg_lo:[0,0,1] neg_hi:[0,0,1]
	v_pk_add_f32 v[0:1], v[32:33], v[0:1]
	v_mov_b32_e32 v32, v114
	v_mov_b32_e32 v33, v120
	v_pk_add_f32 v[132:133], v[142:143], v[132:133]
	v_mov_b32_e32 v149, v135
	v_pk_fma_f32 v[134:135], v[150:151], s[0:1], v[152:153] neg_lo:[0,0,1] neg_hi:[0,0,1]
	v_mov_b32_e32 v162, v121
	v_mov_b32_e32 v163, v115
	v_pk_mul_f32 v[164:165], v[32:33], s[42:43]
	v_pk_add_f32 v[132:133], v[148:149], v[132:133]
	v_mov_b32_e32 v155, v135
	v_pk_fma_f32 v[134:135], v[156:157], s[12:13], v[158:159] neg_lo:[0,0,1] neg_hi:[0,0,1]
	v_pk_fma_f32 v[32:33], v[162:163], s[14:15], v[164:165] neg_lo:[1,0,0] neg_hi:[1,0,0]
	v_pk_fma_f32 v[166:167], v[162:163], s[14:15], v[164:165]
	v_pk_add_f32 v[132:133], v[154:155], v[132:133]
	v_mov_b32_e32 v161, v135
	v_pk_fma_f32 v[134:135], v[162:163], s[14:15], v[164:165] neg_lo:[0,0,1] neg_hi:[0,0,1]
	v_mov_b32_e32 v33, v167
	v_pk_add_f32 v[132:133], v[160:161], v[132:133]
	v_mov_b32_e32 v167, v135
	v_pk_add_f32 v[168:169], v[30:31], v[106:107]
	v_pk_mul_f32 v[30:31], v[110:111], s[10:11] op_sel_hi:[1,0]
	v_pk_add_f32 v[132:133], v[166:167], v[132:133]
	v_pk_add_f32 v[0:1], v[32:33], v[0:1]
	v_pk_fma_f32 v[34:35], v[108:109], s[8:9], v[30:31] op_sel:[0,0,1] op_sel_hi:[1,0,0]
	v_pk_fma_f32 v[30:31], v[108:109], s[8:9], v[30:31] op_sel:[0,0,1] op_sel_hi:[1,0,0] neg_lo:[0,0,1] neg_hi:[0,0,1]
	s_mov_b32 s30, s1
	v_pk_mul_f32 v[32:33], v[116:117], s[0:1] op_sel_hi:[1,0]
	s_mov_b32 s34, s17
	s_waitcnt lgkmcnt(0)
	; wave barrier
	ds_write2_b64 v189, v[168:169], v[132:133] offset1:1
	v_pk_mul_f32 v[132:133], v[110:111], s[16:17] op_sel_hi:[1,0]
	v_mov_b32_e32 v38, v34
	v_mov_b32_e32 v39, v31
	v_pk_fma_f32 v[36:37], v[112:113], s[30:31], v[32:33] op_sel:[0,0,1] op_sel_hi:[1,0,0]
	v_pk_fma_f32 v[32:33], v[112:113], s[30:31], v[32:33] op_sel:[0,0,1] op_sel_hi:[1,0,0] neg_lo:[0,0,1] neg_hi:[0,0,1]
	s_mov_b32 s38, s15
	v_pk_fma_f32 v[136:137], v[108:109], s[34:35], v[132:133] op_sel:[0,0,1] op_sel_hi:[1,0,0]
	v_pk_fma_f32 v[132:133], v[108:109], s[34:35], v[132:133] op_sel:[0,0,1] op_sel_hi:[1,0,0] neg_lo:[0,0,1] neg_hi:[0,0,1]
	v_pk_mul_f32 v[134:135], v[116:117], s[14:15] op_sel_hi:[1,0]
	v_mov_b32_e32 v40, v36
	v_mov_b32_e32 v41, v33
	v_pk_add_f32 v[38:39], v[28:29], v[38:39]
	v_mov_b32_e32 v140, v136
	v_mov_b32_e32 v141, v133
	v_pk_fma_f32 v[138:139], v[112:113], s[38:39], v[134:135] op_sel:[0,0,1] op_sel_hi:[1,0,0]
	v_pk_fma_f32 v[134:135], v[112:113], s[38:39], v[134:135] op_sel:[0,0,1] op_sel_hi:[1,0,0] neg_lo:[0,0,1] neg_hi:[0,0,1]
	v_pk_add_f32 v[42:43], v[40:41], v[38:39]
	v_pk_mul_f32 v[38:39], v[122:123], s[14:15] op_sel_hi:[1,0]
	v_mov_b32_e32 v142, v138
	v_mov_b32_e32 v143, v135
	v_pk_mul_f32 v[146:147], v[122:123], s[44:45] op_sel_hi:[1,0]
	v_pk_add_f32 v[140:141], v[28:29], v[140:141]
	v_pk_fma_f32 v[40:41], v[118:119], s[38:39], v[38:39] op_sel:[0,0,1] op_sel_hi:[1,0,0]
	v_pk_fma_f32 v[38:39], v[118:119], s[38:39], v[38:39] op_sel:[0,0,1] op_sel_hi:[1,0,0] neg_lo:[0,0,1] neg_hi:[0,0,1]
	v_pk_add_f32 v[142:143], v[142:143], v[140:141]
	v_pk_fma_f32 v[144:145], v[118:119], s[30:31], v[146:147] op_sel:[0,0,1] op_sel_hi:[1,0,0]
	v_pk_fma_f32 v[140:141], v[118:119], s[30:31], v[146:147] op_sel:[0,0,1] op_sel_hi:[1,0,0] neg_lo:[0,0,1] neg_hi:[0,0,1]
	v_mov_b32_e32 v44, v40
	v_mov_b32_e32 v45, v39
	;; [unrolled: 1-line block ×4, first 2 shown]
	v_pk_add_f32 v[46:47], v[44:45], v[42:43]
	s_mov_b32 s36, s13
	v_pk_mul_f32 v[42:43], v[126:127], s[24:25] op_sel_hi:[1,0]
	s_mov_b32 s40, s23
	v_pk_add_f32 v[148:149], v[146:147], v[142:143]
	v_pk_mul_f32 v[142:143], v[126:127], s[20:21] op_sel_hi:[1,0]
	v_pk_fma_f32 v[44:45], v[124:125], s[36:37], v[42:43] op_sel:[0,0,1] op_sel_hi:[1,0,0]
	v_pk_fma_f32 v[42:43], v[124:125], s[36:37], v[42:43] op_sel:[0,0,1] op_sel_hi:[1,0,0] neg_lo:[0,0,1] neg_hi:[0,0,1]
	v_pk_fma_f32 v[146:147], v[124:125], s[40:41], v[142:143] op_sel:[0,0,1] op_sel_hi:[1,0,0]
	v_pk_fma_f32 v[142:143], v[124:125], s[40:41], v[142:143] op_sel:[0,0,1] op_sel_hi:[1,0,0] neg_lo:[0,0,1] neg_hi:[0,0,1]
	v_mov_b32_e32 v48, v44
	v_mov_b32_e32 v49, v43
	;; [unrolled: 1-line block ×4, first 2 shown]
	v_pk_add_f32 v[50:51], v[48:49], v[46:47]
	v_pk_mul_f32 v[46:47], v[130:131], s[18:19] op_sel_hi:[1,0]
	v_pk_add_f32 v[152:153], v[150:151], v[148:149]
	v_pk_mul_f32 v[148:149], v[130:131], s[10:11] op_sel_hi:[1,0]
	v_pk_fma_f32 v[48:49], v[128:129], s[34:35], v[46:47] op_sel:[0,0,1] op_sel_hi:[1,0,0]
	v_pk_fma_f32 v[46:47], v[128:129], s[34:35], v[46:47] op_sel:[0,0,1] op_sel_hi:[1,0,0] neg_lo:[0,0,1] neg_hi:[0,0,1]
	v_pk_fma_f32 v[150:151], v[128:129], s[8:9], v[148:149] op_sel:[0,0,1] op_sel_hi:[1,0,0]
	v_pk_fma_f32 v[148:149], v[128:129], s[8:9], v[148:149] op_sel:[0,0,1] op_sel_hi:[1,0,0] neg_lo:[0,0,1] neg_hi:[0,0,1]
	v_mov_b32_e32 v106, v48
	v_mov_b32_e32 v107, v47
	v_mov_b32_e32 v154, v150
	v_mov_b32_e32 v155, v149
	v_pk_add_f32 v[170:171], v[106:107], v[50:51]
	v_pk_mul_f32 v[106:107], v[120:121], s[20:21] op_sel_hi:[1,0]
	v_pk_add_f32 v[156:157], v[154:155], v[152:153]
	v_pk_mul_f32 v[154:155], v[120:121], s[12:13] op_sel_hi:[1,0]
	v_pk_fma_f32 v[50:51], v[114:115], s[40:41], v[106:107] op_sel:[0,0,1] op_sel_hi:[1,0,0]
	v_pk_fma_f32 v[106:107], v[114:115], s[40:41], v[106:107] op_sel:[0,0,1] op_sel_hi:[1,0,0] neg_lo:[0,0,1] neg_hi:[0,0,1]
	v_pk_fma_f32 v[152:153], v[114:115], s[36:37], v[154:155] op_sel:[0,0,1] op_sel_hi:[1,0,0]
	v_pk_fma_f32 v[154:155], v[114:115], s[36:37], v[154:155] op_sel:[0,0,1] op_sel_hi:[1,0,0] neg_lo:[0,0,1] neg_hi:[0,0,1]
	v_mov_b32_e32 v172, v50
	v_mov_b32_e32 v173, v107
	;; [unrolled: 1-line block ×4, first 2 shown]
	v_pk_add_f32 v[170:171], v[172:173], v[170:171]
	v_pk_add_f32 v[156:157], v[158:159], v[156:157]
	ds_write2_b64 v189, v[170:171], v[156:157] offset0:2 offset1:3
	v_pk_mul_f32 v[156:157], v[110:111], s[0:1] op_sel_hi:[1,0]
	v_pk_mul_f32 v[162:163], v[116:117], s[24:25] op_sel_hi:[1,0]
	v_pk_fma_f32 v[158:159], v[108:109], s[30:31], v[156:157] op_sel:[0,0,1] op_sel_hi:[1,0,0]
	v_pk_fma_f32 v[156:157], v[108:109], s[30:31], v[156:157] op_sel:[0,0,1] op_sel_hi:[1,0,0] neg_lo:[0,0,1] neg_hi:[0,0,1]
	v_mov_b32_e32 v160, v158
	v_mov_b32_e32 v161, v157
	v_pk_fma_f32 v[164:165], v[112:113], s[36:37], v[162:163] op_sel:[0,0,1] op_sel_hi:[1,0,0]
	v_pk_fma_f32 v[162:163], v[112:113], s[36:37], v[162:163] op_sel:[0,0,1] op_sel_hi:[1,0,0] neg_lo:[0,0,1] neg_hi:[0,0,1]
	v_mov_b32_e32 v166, v164
	v_mov_b32_e32 v167, v163
	v_pk_add_f32 v[160:161], v[28:29], v[160:161]
	v_pk_mul_f32 v[196:197], v[116:117], s[18:19] op_sel_hi:[1,0]
	v_pk_add_f32 v[160:161], v[166:167], v[160:161]
	v_pk_mul_f32 v[166:167], v[122:123], s[20:21] op_sel_hi:[1,0]
	v_pk_fma_f32 v[198:199], v[112:113], s[34:35], v[196:197] op_sel:[0,0,1] op_sel_hi:[1,0,0]
	v_pk_fma_f32 v[168:169], v[118:119], s[40:41], v[166:167] op_sel:[0,0,1] op_sel_hi:[1,0,0]
	v_pk_fma_f32 v[166:167], v[118:119], s[40:41], v[166:167] op_sel:[0,0,1] op_sel_hi:[1,0,0] neg_lo:[0,0,1] neg_hi:[0,0,1]
	v_mov_b32_e32 v170, v168
	v_mov_b32_e32 v171, v167
	v_pk_add_f32 v[160:161], v[170:171], v[160:161]
	v_pk_mul_f32 v[170:171], v[126:127], s[16:17] op_sel_hi:[1,0]
	v_pk_fma_f32 v[196:197], v[112:113], s[34:35], v[196:197] op_sel:[0,0,1] op_sel_hi:[1,0,0] neg_lo:[0,0,1] neg_hi:[0,0,1]
	v_pk_fma_f32 v[172:173], v[124:125], s[34:35], v[170:171] op_sel:[0,0,1] op_sel_hi:[1,0,0]
	v_pk_fma_f32 v[170:171], v[124:125], s[34:35], v[170:171] op_sel:[0,0,1] op_sel_hi:[1,0,0] neg_lo:[0,0,1] neg_hi:[0,0,1]
	v_mov_b32_e32 v174, v172
	v_mov_b32_e32 v175, v171
	v_pk_add_f32 v[160:161], v[174:175], v[160:161]
	v_pk_mul_f32 v[174:175], v[130:131], s[28:29] op_sel_hi:[1,0]
	v_mov_b32_e32 v200, v198
	v_pk_fma_f32 v[176:177], v[128:129], s[38:39], v[174:175] op_sel:[0,0,1] op_sel_hi:[1,0,0]
	v_pk_fma_f32 v[174:175], v[128:129], s[38:39], v[174:175] op_sel:[0,0,1] op_sel_hi:[1,0,0] neg_lo:[0,0,1] neg_hi:[0,0,1]
	v_mov_b32_e32 v178, v176
	v_mov_b32_e32 v179, v175
	v_pk_add_f32 v[160:161], v[178:179], v[160:161]
	v_pk_mul_f32 v[178:179], v[120:121], s[26:27] op_sel_hi:[1,0]
	v_mov_b32_e32 v201, v197
	v_pk_fma_f32 v[180:181], v[114:115], s[8:9], v[178:179] op_sel:[0,0,1] op_sel_hi:[1,0,0]
	v_pk_fma_f32 v[178:179], v[114:115], s[8:9], v[178:179] op_sel:[0,0,1] op_sel_hi:[1,0,0] neg_lo:[0,0,1] neg_hi:[0,0,1]
	v_mov_b32_e32 v182, v180
	v_mov_b32_e32 v183, v179
	v_pk_add_f32 v[160:161], v[182:183], v[160:161]
	v_pk_mul_f32 v[182:183], v[110:111], s[12:13] op_sel_hi:[1,0]
	v_pk_mul_f32 v[110:111], v[110:111], s[14:15] op_sel_hi:[1,0]
	v_pk_fma_f32 v[184:185], v[108:109], s[36:37], v[182:183] op_sel:[0,0,1] op_sel_hi:[1,0,0]
	v_pk_fma_f32 v[182:183], v[108:109], s[36:37], v[182:183] op_sel:[0,0,1] op_sel_hi:[1,0,0] neg_lo:[0,0,1] neg_hi:[0,0,1]
	v_mov_b32_e32 v186, v184
	v_mov_b32_e32 v187, v183
	v_pk_add_f32 v[186:187], v[28:29], v[186:187]
	v_mov_b32_e32 v183, v185
	v_pk_add_f32 v[186:187], v[200:201], v[186:187]
	v_pk_mul_f32 v[200:201], v[122:123], s[10:11] op_sel_hi:[1,0]
	v_mov_b32_e32 v157, v159
	v_pk_fma_f32 v[202:203], v[118:119], s[8:9], v[200:201] op_sel:[0,0,1] op_sel_hi:[1,0,0]
	v_pk_fma_f32 v[200:201], v[118:119], s[8:9], v[200:201] op_sel:[0,0,1] op_sel_hi:[1,0,0] neg_lo:[0,0,1] neg_hi:[0,0,1]
	v_mov_b32_e32 v204, v202
	v_mov_b32_e32 v205, v201
	v_pk_add_f32 v[186:187], v[204:205], v[186:187]
	v_pk_mul_f32 v[204:205], v[126:127], s[28:29] op_sel_hi:[1,0]
	v_mov_b32_e32 v197, v199
	v_pk_fma_f32 v[206:207], v[124:125], s[38:39], v[204:205] op_sel:[0,0,1] op_sel_hi:[1,0,0]
	v_pk_fma_f32 v[204:205], v[124:125], s[38:39], v[204:205] op_sel:[0,0,1] op_sel_hi:[1,0,0] neg_lo:[0,0,1] neg_hi:[0,0,1]
	v_mov_b32_e32 v208, v206
	;; [unrolled: 7-line block ×3, first 2 shown]
	v_mov_b32_e32 v213, v209
	v_pk_add_f32 v[186:187], v[212:213], v[186:187]
	v_pk_mul_f32 v[212:213], v[120:121], s[0:1] op_sel_hi:[1,0]
	v_pk_mul_f32 v[120:121], v[120:121], s[18:19] op_sel_hi:[1,0]
	v_pk_fma_f32 v[214:215], v[114:115], s[30:31], v[212:213] op_sel:[0,0,1] op_sel_hi:[1,0,0]
	v_pk_fma_f32 v[212:213], v[114:115], s[30:31], v[212:213] op_sel:[0,0,1] op_sel_hi:[1,0,0] neg_lo:[0,0,1] neg_hi:[0,0,1]
	v_mov_b32_e32 v216, v214
	v_mov_b32_e32 v217, v213
	v_pk_add_f32 v[186:187], v[216:217], v[186:187]
	ds_write2_b64 v189, v[160:161], v[186:187] offset0:4 offset1:5
	v_pk_fma_f32 v[160:161], v[108:109], s[38:39], v[110:111] op_sel:[0,0,1] op_sel_hi:[1,0,0]
	v_pk_fma_f32 v[108:109], v[108:109], s[38:39], v[110:111] op_sel:[0,0,1] op_sel_hi:[1,0,0] neg_lo:[0,0,1] neg_hi:[0,0,1]
	v_pk_mul_f32 v[110:111], v[116:117], s[20:21] op_sel_hi:[1,0]
	v_mov_b32_e32 v201, v203
	v_pk_fma_f32 v[116:117], v[112:113], s[40:41], v[110:111] op_sel:[0,0,1] op_sel_hi:[1,0,0]
	v_pk_fma_f32 v[110:111], v[112:113], s[40:41], v[110:111] op_sel:[0,0,1] op_sel_hi:[1,0,0] neg_lo:[0,0,1] neg_hi:[0,0,1]
	v_pk_mul_f32 v[112:113], v[122:123], s[12:13] op_sel_hi:[1,0]
	v_mov_b32_e32 v186, v116
	;; [unrolled: 4-line block ×4, first 2 shown]
	v_pk_fma_f32 v[130:131], v[128:129], s[30:31], v[124:125] op_sel:[0,0,1] op_sel_hi:[1,0,0]
	v_pk_fma_f32 v[124:125], v[128:129], s[30:31], v[124:125] op_sel:[0,0,1] op_sel_hi:[1,0,0] neg_lo:[0,0,1] neg_hi:[0,0,1]
	v_mov_b32_e32 v128, v160
	v_mov_b32_e32 v129, v109
	v_pk_add_f32 v[128:129], v[28:29], v[128:129]
	v_mov_b32_e32 v109, v161
	v_pk_add_f32 v[128:129], v[186:187], v[128:129]
	v_mov_b32_e32 v186, v122
	v_mov_b32_e32 v187, v113
	v_pk_add_f32 v[108:109], v[28:29], v[108:109]
	v_pk_add_f32 v[128:129], v[186:187], v[128:129]
	v_mov_b32_e32 v186, v126
	v_mov_b32_e32 v187, v119
	;; [unrolled: 1-line block ×3, first 2 shown]
	v_pk_add_f32 v[108:109], v[110:111], v[108:109]
	v_pk_add_f32 v[128:129], v[186:187], v[128:129]
	v_mov_b32_e32 v186, v130
	v_mov_b32_e32 v187, v125
	;; [unrolled: 1-line block ×3, first 2 shown]
	v_pk_add_f32 v[108:109], v[112:113], v[108:109]
	v_pk_add_f32 v[128:129], v[186:187], v[128:129]
	v_pk_fma_f32 v[186:187], v[114:115], s[34:35], v[120:121] op_sel:[0,0,1] op_sel_hi:[1,0,0]
	v_pk_fma_f32 v[114:115], v[114:115], s[34:35], v[120:121] op_sel:[0,0,1] op_sel_hi:[1,0,0] neg_lo:[0,0,1] neg_hi:[0,0,1]
	v_mov_b32_e32 v125, v131
	v_pk_add_f32 v[108:109], v[118:119], v[108:109]
	v_mov_b32_e32 v120, v186
	v_mov_b32_e32 v121, v115
	v_pk_add_f32 v[108:109], v[124:125], v[108:109]
	v_mov_b32_e32 v115, v187
	v_pk_add_f32 v[120:121], v[120:121], v[128:129]
	v_pk_add_f32 v[108:109], v[114:115], v[108:109]
	ds_write2_b64 v189, v[120:121], v[108:109] offset0:6 offset1:7
	v_pk_add_f32 v[108:109], v[28:29], v[182:183]
	v_pk_add_f32 v[110:111], v[28:29], v[156:157]
	;; [unrolled: 1-line block ×3, first 2 shown]
	v_mov_b32_e32 v167, v169
	v_pk_add_f32 v[110:111], v[162:163], v[110:111]
	v_mov_b32_e32 v205, v207
	v_pk_add_f32 v[108:109], v[200:201], v[108:109]
	;; [unrolled: 2-line block ×5, first 2 shown]
	v_pk_add_f32 v[108:109], v[208:209], v[108:109]
	v_mov_b32_e32 v213, v215
	v_pk_add_f32 v[110:111], v[174:175], v[110:111]
	v_mov_b32_e32 v179, v181
	v_pk_add_f32 v[108:109], v[212:213], v[108:109]
	v_pk_add_f32 v[116:117], v[178:179], v[110:111]
	v_mov_b32_e32 v133, v137
	v_mov_b32_e32 v31, v35
	ds_write2_b64 v189, v[108:109], v[116:117] offset0:8 offset1:9
	v_mov_b32_e32 v135, v139
	v_pk_add_f32 v[108:109], v[28:29], v[132:133]
	v_mov_b32_e32 v33, v37
	v_pk_add_f32 v[28:29], v[28:29], v[30:31]
	;; [unrolled: 2-line block ×8, first 2 shown]
	v_pk_add_f32 v[108:109], v[148:149], v[108:109]
	v_mov_b32_e32 v155, v153
	v_pk_add_f32 v[28:29], v[46:47], v[28:29]
	v_mov_b32_e32 v107, v51
	v_pk_add_f32 v[108:109], v[154:155], v[108:109]
	v_pk_add_f32 v[28:29], v[106:107], v[28:29]
	ds_write2_b64 v189, v[108:109], v[28:29] offset0:10 offset1:11
	ds_write_b64 v189, v[0:1] offset:96
	s_waitcnt lgkmcnt(0)
	; wave barrier
	s_waitcnt lgkmcnt(0)
	ds_read2_b64 v[44:47], v65 offset1:26
	ds_read2_b64 v[48:51], v65 offset0:169 offset1:195
	ds_read2_b64 v[36:39], v65 offset0:52 offset1:78
	;; [unrolled: 1-line block ×5, first 2 shown]
	v_mov_b32_e32 v122, v88
	v_mov_b32_e32 v123, v88
	;; [unrolled: 1-line block ×22, first 2 shown]
	s_and_saveexec_b64 s[0:1], vcc
	s_cbranch_execz .LBB0_7
; %bb.6:
	v_add_u32_e32 v0, 0x400, v65
	ds_read2_b64 v[0:3], v0 offset0:28 offset1:197
.LBB0_7:
	s_or_b64 exec, exec, s[0:1]
	s_waitcnt lgkmcnt(4)
	v_pk_mul_f32 v[88:89], v[88:89], v[48:49]
	v_pk_mul_f32 v[86:87], v[86:87], v[50:51]
	v_pk_fma_f32 v[126:127], v[122:123], v[48:49], v[88:89] op_sel:[0,0,1] op_sel_hi:[1,1,0]
	v_pk_fma_f32 v[48:49], v[122:123], v[48:49], v[88:89] op_sel:[0,0,1] op_sel_hi:[1,1,0] neg_lo:[0,0,1] neg_hi:[0,0,1]
	s_waitcnt lgkmcnt(0)
	v_mov_b32_e32 v127, v49
	v_pk_add_f32 v[48:49], v[44:45], v[126:127] neg_lo:[0,1] neg_hi:[0,1]
	; wave barrier
	s_nop 0
	v_pk_fma_f32 v[44:45], v[44:45], 2.0, v[48:49] op_sel_hi:[1,0,1] neg_lo:[0,0,1] neg_hi:[0,0,1]
	ds_write2_b64 v190, v[44:45], v[48:49] offset1:13
	v_pk_fma_f32 v[44:45], v[120:121], v[50:51], v[86:87] op_sel:[0,0,1] op_sel_hi:[1,1,0]
	v_pk_fma_f32 v[48:49], v[120:121], v[50:51], v[86:87] op_sel:[0,0,1] op_sel_hi:[1,1,0] neg_lo:[0,0,1] neg_hi:[0,0,1]
	v_pk_mul_f32 v[84:85], v[84:85], v[40:41]
	v_mov_b32_e32 v45, v49
	v_pk_add_f32 v[44:45], v[46:47], v[44:45] neg_lo:[0,1] neg_hi:[0,1]
	v_pk_mul_f32 v[90:91], v[90:91], v[42:43]
	v_pk_fma_f32 v[46:47], v[46:47], 2.0, v[44:45] op_sel_hi:[1,0,1] neg_lo:[0,0,1] neg_hi:[0,0,1]
	ds_write2_b64 v193, v[46:47], v[44:45] offset1:13
	v_pk_fma_f32 v[44:45], v[118:119], v[40:41], v[84:85] op_sel:[0,0,1] op_sel_hi:[1,1,0]
	v_pk_fma_f32 v[40:41], v[118:119], v[40:41], v[84:85] op_sel:[0,0,1] op_sel_hi:[1,1,0] neg_lo:[0,0,1] neg_hi:[0,0,1]
	v_pk_mul_f32 v[92:93], v[92:93], v[32:33]
	v_mov_b32_e32 v45, v41
	v_pk_add_f32 v[40:41], v[36:37], v[44:45] neg_lo:[0,1] neg_hi:[0,1]
	v_pk_mul_f32 v[94:95], v[94:95], v[34:35]
	v_pk_fma_f32 v[36:37], v[36:37], 2.0, v[40:41] op_sel_hi:[1,0,1] neg_lo:[0,0,1] neg_hi:[0,0,1]
	ds_write2_b64 v192, v[36:37], v[40:41] offset1:13
	v_pk_fma_f32 v[36:37], v[114:115], v[42:43], v[90:91] op_sel:[0,0,1] op_sel_hi:[1,1,0]
	v_pk_fma_f32 v[40:41], v[114:115], v[42:43], v[90:91] op_sel:[0,0,1] op_sel_hi:[1,1,0] neg_lo:[0,0,1] neg_hi:[0,0,1]
	v_mov_b32_e32 v7, v6
	v_mov_b32_e32 v37, v41
	v_pk_add_f32 v[36:37], v[38:39], v[36:37] neg_lo:[0,1] neg_hi:[0,1]
	v_mov_b32_e32 v105, v104
	v_pk_fma_f32 v[38:39], v[38:39], 2.0, v[36:37] op_sel_hi:[1,0,1] neg_lo:[0,0,1] neg_hi:[0,0,1]
	ds_write2_b64 v191, v[38:39], v[36:37] offset1:13
	v_pk_fma_f32 v[36:37], v[112:113], v[32:33], v[92:93] op_sel:[0,0,1] op_sel_hi:[1,1,0]
	v_pk_fma_f32 v[32:33], v[112:113], v[32:33], v[92:93] op_sel:[0,0,1] op_sel_hi:[1,1,0] neg_lo:[0,0,1] neg_hi:[0,0,1]
	v_mov_b32_e32 v17, v16
	v_mov_b32_e32 v37, v33
	v_pk_add_f32 v[32:33], v[28:29], v[36:37] neg_lo:[0,1] neg_hi:[0,1]
	v_mov_b32_e32 v125, v124
	;; [unrolled: 8-line block ×3, first 2 shown]
	v_mov_b32_e32 v13, v12
	v_mov_b32_e32 v117, v116
	;; [unrolled: 1-line block ×12, first 2 shown]
	v_pk_fma_f32 v[30:31], v[30:31], 2.0, v[28:29] op_sel_hi:[1,0,1] neg_lo:[0,0,1] neg_hi:[0,0,1]
	ds_write2_b64 v195, v[30:31], v[28:29] offset1:13
	s_and_saveexec_b64 s[0:1], vcc
	s_cbranch_execz .LBB0_9
; %bb.8:
	v_pk_mul_f32 v[28:29], v[82:83], v[2:3] op_sel:[0,1]
	v_and_b32_e32 v30, 0xff, v53
	v_lshl_add_u32 v32, v30, 3, v188
	v_pk_fma_f32 v[30:31], v[82:83], v[2:3], v[28:29] op_sel:[0,0,1] op_sel_hi:[1,1,0]
	v_pk_fma_f32 v[2:3], v[82:83], v[2:3], v[28:29] op_sel:[0,0,1] op_sel_hi:[1,0,0] neg_lo:[1,0,0] neg_hi:[1,0,0]
	v_add_u32_e32 v28, 0x800, v32
	v_mov_b32_e32 v31, v3
	v_pk_add_f32 v[2:3], v[0:1], v[30:31] neg_lo:[0,1] neg_hi:[0,1]
	s_nop 0
	v_pk_fma_f32 v[0:1], v[0:1], 2.0, v[2:3] op_sel_hi:[1,0,1] neg_lo:[0,0,1] neg_hi:[0,0,1]
	ds_write2_b64 v28, v[0:1], v[2:3] offset0:56 offset1:69
.LBB0_9:
	s_or_b64 exec, exec, s[0:1]
	s_waitcnt lgkmcnt(0)
	; wave barrier
	s_waitcnt lgkmcnt(0)
	ds_read2_b64 v[0:3], v65 offset1:26
	ds_read2_b64 v[32:35], v65 offset0:104 offset1:130
	ds_read2_b64 v[36:39], v65 offset0:156 offset1:182
	;; [unrolled: 1-line block ×3, first 2 shown]
	v_add_u32_e32 v46, 0x800, v65
	ds_read2_b64 v[48:51], v46 offset0:4 offset1:30
	ds_read_b64 v[44:45], v65 offset:2496
	s_waitcnt lgkmcnt(4)
	v_pk_mul_f32 v[82:83], v[104:105], v[32:33]
	v_mov_b32_e32 v28, s2
	v_pk_fma_f32 v[84:85], v[6:7], v[32:33], v[82:83] op_sel:[0,0,1] op_sel_hi:[1,1,0]
	v_pk_fma_f32 v[6:7], v[6:7], v[32:33], v[82:83] op_sel:[0,0,1] op_sel_hi:[1,1,0] neg_lo:[0,0,1] neg_hi:[0,0,1]
	v_mad_u64_u32 v[30:31], s[0:1], s6, v64, 0
	v_mov_b32_e32 v85, v7
	v_pk_mul_f32 v[6:7], v[124:125], v[34:35]
	s_mov_b32 s2, 0xbeedf032
	v_pk_fma_f32 v[32:33], v[16:17], v[34:35], v[6:7] op_sel:[0,0,1] op_sel_hi:[1,1,0]
	v_pk_fma_f32 v[6:7], v[16:17], v[34:35], v[6:7] op_sel:[0,0,1] op_sel_hi:[1,1,0] neg_lo:[0,0,1] neg_hi:[0,0,1]
	s_mov_b32 s0, 0x3f62ad3f
	v_mov_b32_e32 v33, v7
	s_waitcnt lgkmcnt(3)
	v_pk_mul_f32 v[6:7], v[102:103], v[36:37]
	s_mov_b32 s16, 0xbf52af12
	v_pk_fma_f32 v[34:35], v[18:19], v[36:37], v[6:7] op_sel:[0,0,1] op_sel_hi:[1,1,0]
	v_pk_fma_f32 v[6:7], v[18:19], v[36:37], v[6:7] op_sel:[0,0,1] op_sel_hi:[1,1,0] neg_lo:[0,0,1] neg_hi:[0,0,1]
	s_mov_b32 s24, 0xbf7e222b
	v_mov_b32_e32 v35, v7
	v_pk_mul_f32 v[6:7], v[116:117], v[38:39]
	s_mov_b32 s6, 0x3df6dbef
	v_pk_fma_f32 v[36:37], v[12:13], v[38:39], v[6:7] op_sel:[0,0,1] op_sel_hi:[1,1,0]
	v_pk_fma_f32 v[6:7], v[12:13], v[38:39], v[6:7] op_sel:[0,0,1] op_sel_hi:[1,1,0] neg_lo:[0,0,1] neg_hi:[0,0,1]
	s_mov_b32 s10, 0xbf6f5d39
	v_mov_b32_e32 v37, v7
	s_waitcnt lgkmcnt(2)
	v_pk_mul_f32 v[6:7], v[98:99], v[40:41]
	s_mov_b32 s8, 0xbeb58ec6
	v_pk_fma_f32 v[18:19], v[14:15], v[40:41], v[6:7] op_sel:[0,0,1] op_sel_hi:[1,1,0]
	v_pk_fma_f32 v[6:7], v[14:15], v[40:41], v[6:7] op_sel:[0,0,1] op_sel_hi:[1,1,0] neg_lo:[0,0,1] neg_hi:[0,0,1]
	ds_read2_b64 v[12:15], v65 offset0:52 offset1:78
	v_mov_b32_e32 v19, v7
	v_pk_mul_f32 v[6:7], v[108:109], v[42:43]
	s_mov_b32 s14, 0xbf29c268
	v_pk_fma_f32 v[16:17], v[24:25], v[42:43], v[6:7] op_sel:[0,0,1] op_sel_hi:[1,1,0]
	v_pk_fma_f32 v[6:7], v[24:25], v[42:43], v[6:7] op_sel:[0,0,1] op_sel_hi:[1,1,0] neg_lo:[0,0,1] neg_hi:[0,0,1]
	v_pk_add_f32 v[94:95], v[32:33], v[18:19]
	v_mov_b32_e32 v17, v7
	s_waitcnt lgkmcnt(2)
	v_pk_mul_f32 v[6:7], v[100:101], v[48:49]
	v_pk_add_f32 v[92:93], v[84:85], v[16:17]
	v_pk_fma_f32 v[24:25], v[26:27], v[48:49], v[6:7] op_sel:[0,0,1] op_sel_hi:[1,1,0]
	v_pk_fma_f32 v[6:7], v[26:27], v[48:49], v[6:7] op_sel:[0,0,1] op_sel_hi:[1,1,0] neg_lo:[0,0,1] neg_hi:[0,0,1]
	s_mov_b32 s12, 0xbf3f9e67
	v_mov_b32_e32 v25, v7
	v_pk_mul_f32 v[6:7], v[106:107], v[50:51]
	v_pk_add_f32 v[100:101], v[34:35], v[36:37] neg_lo:[0,1] neg_hi:[0,1]
	v_pk_fma_f32 v[26:27], v[20:21], v[50:51], v[6:7] op_sel:[0,0,1] op_sel_hi:[1,1,0]
	v_pk_fma_f32 v[6:7], v[20:21], v[50:51], v[6:7] op_sel:[0,0,1] op_sel_hi:[1,1,0] neg_lo:[0,0,1] neg_hi:[0,0,1]
	s_mov_b32 s20, 0xbe750f2a
	v_mov_b32_e32 v27, v7
	s_waitcnt lgkmcnt(1)
	v_pk_mul_f32 v[6:7], v[96:97], v[44:45]
	v_pk_add_f32 v[96:97], v[32:33], v[18:19] neg_lo:[0,1] neg_hi:[0,1]
	v_pk_fma_f32 v[20:21], v[22:23], v[44:45], v[6:7] op_sel:[0,0,1] op_sel_hi:[1,1,0]
	v_pk_fma_f32 v[6:7], v[22:23], v[44:45], v[6:7] op_sel:[0,0,1] op_sel_hi:[1,1,0] neg_lo:[0,0,1] neg_hi:[0,0,1]
	v_pk_add_f32 v[98:99], v[34:35], v[36:37]
	v_mov_b32_e32 v21, v7
	v_pk_mul_f32 v[6:7], v[8:9], v[2:3] op_sel:[1,0]
	s_mov_b32 s18, 0xbf788fa5
	v_pk_fma_f32 v[22:23], v[8:9], v[2:3], v[6:7] op_sel:[0,0,1] op_sel_hi:[1,1,0]
	v_pk_fma_f32 v[2:3], v[8:9], v[2:3], v[6:7] op_sel:[0,0,1] op_sel_hi:[0,1,0] neg_lo:[0,0,1] neg_hi:[0,0,1]
	v_mov_b32_e32 v23, v3
	s_waitcnt lgkmcnt(0)
	v_pk_mul_f32 v[2:3], v[10:11], v[12:13] op_sel:[1,0]
	v_pk_add_f32 v[50:51], v[22:23], v[20:21] neg_lo:[0,1] neg_hi:[0,1]
	v_pk_fma_f32 v[6:7], v[10:11], v[12:13], v[2:3] op_sel:[0,0,1] op_sel_hi:[1,1,0]
	v_pk_fma_f32 v[2:3], v[10:11], v[12:13], v[2:3] op_sel:[0,0,1] op_sel_hi:[0,1,0] neg_lo:[0,0,1] neg_hi:[0,0,1]
	v_mov_b32_e32 v7, v3
	v_pk_mul_f32 v[2:3], v[4:5], v[14:15] op_sel:[1,0]
	v_pk_add_f32 v[48:49], v[22:23], v[20:21]
	v_pk_fma_f32 v[10:11], v[4:5], v[14:15], v[2:3] op_sel:[0,0,1] op_sel_hi:[1,1,0]
	v_pk_fma_f32 v[2:3], v[4:5], v[14:15], v[2:3] op_sel:[0,0,1] op_sel_hi:[0,1,0] neg_lo:[0,0,1] neg_hi:[0,0,1]
	v_mov_b32_e32 v11, v3
	v_pk_add_f32 v[2:3], v[0:1], v[22:23]
	v_pk_mul_f32 v[4:5], v[50:51], s[2:3] op_sel_hi:[1,0]
	v_pk_add_f32 v[2:3], v[2:3], v[6:7]
	v_pk_add_f32 v[86:87], v[6:7], v[26:27] neg_lo:[0,1] neg_hi:[0,1]
	v_pk_add_f32 v[2:3], v[2:3], v[10:11]
	v_pk_add_f32 v[82:83], v[6:7], v[26:27]
	;; [unrolled: 1-line block ×3, first 2 shown]
	s_mov_b32 s2, 0x3f116cb1
	v_pk_add_f32 v[2:3], v[2:3], v[32:33]
	v_pk_add_f32 v[90:91], v[10:11], v[24:25] neg_lo:[0,1] neg_hi:[0,1]
	v_pk_add_f32 v[2:3], v[2:3], v[34:35]
	v_pk_add_f32 v[88:89], v[10:11], v[24:25]
	;; [unrolled: 1-line block ×3, first 2 shown]
	v_pk_add_f32 v[84:85], v[84:85], v[16:17] neg_lo:[0,1] neg_hi:[0,1]
	v_pk_add_f32 v[2:3], v[2:3], v[18:19]
	v_pk_mul_f32 v[36:37], v[86:87], s[10:11] op_sel_hi:[1,0]
	v_pk_add_f32 v[2:3], v[2:3], v[16:17]
	v_pk_mul_f32 v[16:17], v[84:85], s[10:11] op_sel_hi:[1,0]
	v_pk_add_f32 v[2:3], v[2:3], v[24:25]
	s_mov_b32 s28, 0x3f29c268
	v_pk_add_f32 v[2:3], v[2:3], v[26:27]
	s_mov_b32 s22, 0x3f7e222b
	v_pk_add_f32 v[38:39], v[2:3], v[20:21]
	v_pk_fma_f32 v[2:3], v[48:49], s[0:1], v[4:5] op_sel:[0,0,1] op_sel_hi:[1,0,0]
	v_pk_fma_f32 v[4:5], v[48:49], s[0:1], v[4:5] op_sel:[0,0,1] op_sel_hi:[1,0,0] neg_lo:[0,0,1] neg_hi:[0,0,1]
	v_mov_b32_e32 v8, v2
	v_mov_b32_e32 v9, v5
	v_pk_add_f32 v[12:13], v[0:1], v[8:9]
	v_pk_mul_f32 v[8:9], v[86:87], s[16:17] op_sel_hi:[1,0]
	s_mov_b32 s26, 0x3eedf032
	v_pk_fma_f32 v[6:7], v[82:83], s[2:3], v[8:9] op_sel:[0,0,1] op_sel_hi:[1,0,0]
	v_pk_fma_f32 v[8:9], v[82:83], s[2:3], v[8:9] op_sel:[0,0,1] op_sel_hi:[1,0,0] neg_lo:[0,0,1] neg_hi:[0,0,1]
	v_mov_b32_e32 v14, v6
	v_mov_b32_e32 v15, v9
	v_pk_add_f32 v[14:15], v[14:15], v[12:13]
	v_pk_mul_f32 v[12:13], v[90:91], s[24:25] op_sel_hi:[1,0]
	v_pk_mul_f32 v[118:119], v[86:87], s[20:21] op_sel_hi:[1,0]
	v_pk_fma_f32 v[10:11], v[88:89], s[6:7], v[12:13] op_sel:[0,0,1] op_sel_hi:[1,0,0]
	v_pk_fma_f32 v[12:13], v[88:89], s[6:7], v[12:13] op_sel:[0,0,1] op_sel_hi:[1,0,0] neg_lo:[0,0,1] neg_hi:[0,0,1]
	v_mov_b32_e32 v20, v10
	v_mov_b32_e32 v21, v13
	v_pk_add_f32 v[20:21], v[20:21], v[14:15]
	v_pk_fma_f32 v[14:15], v[92:93], s[8:9], v[16:17] op_sel:[0,0,1] op_sel_hi:[1,0,0]
	v_pk_fma_f32 v[16:17], v[92:93], s[8:9], v[16:17] op_sel:[0,0,1] op_sel_hi:[1,0,0] neg_lo:[0,0,1] neg_hi:[0,0,1]
	v_mov_b32_e32 v22, v14
	v_mov_b32_e32 v23, v17
	v_pk_add_f32 v[22:23], v[22:23], v[20:21]
	v_pk_mul_f32 v[20:21], v[96:97], s[14:15] op_sel_hi:[1,0]
	v_pk_fma_f32 v[120:121], v[82:83], s[18:19], v[118:119] op_sel:[0,0,1] op_sel_hi:[1,0,0]
	v_pk_fma_f32 v[18:19], v[94:95], s[12:13], v[20:21] op_sel:[0,0,1] op_sel_hi:[1,0,0]
	v_pk_fma_f32 v[20:21], v[94:95], s[12:13], v[20:21] op_sel:[0,0,1] op_sel_hi:[1,0,0] neg_lo:[0,0,1] neg_hi:[0,0,1]
	v_mov_b32_e32 v24, v18
	v_mov_b32_e32 v25, v21
	v_pk_add_f32 v[26:27], v[24:25], v[22:23]
	v_pk_mul_f32 v[24:25], v[100:101], s[20:21] op_sel_hi:[1,0]
	v_pk_fma_f32 v[118:119], v[82:83], s[18:19], v[118:119] op_sel:[0,0,1] op_sel_hi:[1,0,0] neg_lo:[0,0,1] neg_hi:[0,0,1]
	v_pk_fma_f32 v[22:23], v[98:99], s[18:19], v[24:25] op_sel:[0,0,1] op_sel_hi:[1,0,0]
	v_pk_fma_f32 v[24:25], v[98:99], s[18:19], v[24:25] op_sel:[0,0,1] op_sel_hi:[1,0,0] neg_lo:[0,0,1] neg_hi:[0,0,1]
	v_mov_b32_e32 v32, v22
	v_mov_b32_e32 v33, v25
	v_pk_add_f32 v[26:27], v[32:33], v[26:27]
	v_pk_mul_f32 v[32:33], v[50:51], s[16:17] op_sel_hi:[1,0]
	ds_write2_b64 v65, v[38:39], v[26:27] offset1:26
	v_pk_fma_f32 v[26:27], v[48:49], s[2:3], v[32:33] op_sel:[0,0,1] op_sel_hi:[1,0,0]
	v_pk_fma_f32 v[32:33], v[48:49], s[2:3], v[32:33] op_sel:[0,0,1] op_sel_hi:[1,0,0] neg_lo:[0,0,1] neg_hi:[0,0,1]
	v_mov_b32_e32 v34, v26
	v_mov_b32_e32 v35, v33
	v_pk_add_f32 v[38:39], v[0:1], v[34:35]
	v_pk_fma_f32 v[34:35], v[82:83], s[8:9], v[36:37] op_sel:[0,0,1] op_sel_hi:[1,0,0]
	v_pk_fma_f32 v[36:37], v[82:83], s[8:9], v[36:37] op_sel:[0,0,1] op_sel_hi:[1,0,0] neg_lo:[0,0,1] neg_hi:[0,0,1]
	v_mov_b32_e32 v40, v34
	v_mov_b32_e32 v41, v37
	v_pk_add_f32 v[42:43], v[40:41], v[38:39]
	v_pk_mul_f32 v[40:41], v[90:91], s[20:21] op_sel_hi:[1,0]
	v_mov_b32_e32 v122, v120
	v_pk_fma_f32 v[38:39], v[88:89], s[18:19], v[40:41] op_sel:[0,0,1] op_sel_hi:[1,0,0]
	v_pk_fma_f32 v[40:41], v[88:89], s[18:19], v[40:41] op_sel:[0,0,1] op_sel_hi:[1,0,0] neg_lo:[0,0,1] neg_hi:[0,0,1]
	v_mov_b32_e32 v44, v38
	v_mov_b32_e32 v45, v41
	v_pk_add_f32 v[102:103], v[44:45], v[42:43]
	v_pk_mul_f32 v[44:45], v[84:85], s[28:29] op_sel_hi:[1,0]
	v_mov_b32_e32 v123, v119
	v_pk_fma_f32 v[42:43], v[92:93], s[12:13], v[44:45] op_sel:[0,0,1] op_sel_hi:[1,0,0]
	v_pk_fma_f32 v[44:45], v[92:93], s[12:13], v[44:45] op_sel:[0,0,1] op_sel_hi:[1,0,0] neg_lo:[0,0,1] neg_hi:[0,0,1]
	v_mov_b32_e32 v104, v42
	v_mov_b32_e32 v105, v45
	v_pk_add_f32 v[102:103], v[104:105], v[102:103]
	v_pk_mul_f32 v[104:105], v[96:97], s[22:23] op_sel_hi:[1,0]
	s_mov_b32 s30, 0x3f6f5d39
	v_pk_fma_f32 v[106:107], v[94:95], s[6:7], v[104:105] op_sel:[0,0,1] op_sel_hi:[1,0,0]
	v_pk_fma_f32 v[104:105], v[94:95], s[6:7], v[104:105] op_sel:[0,0,1] op_sel_hi:[1,0,0] neg_lo:[0,0,1] neg_hi:[0,0,1]
	v_mov_b32_e32 v108, v106
	v_mov_b32_e32 v109, v105
	v_pk_add_f32 v[102:103], v[108:109], v[102:103]
	v_pk_mul_f32 v[108:109], v[100:101], s[26:27] op_sel_hi:[1,0]
	v_pk_mul_f32 v[140:141], v[86:87], s[28:29] op_sel_hi:[1,0]
	v_pk_fma_f32 v[110:111], v[98:99], s[0:1], v[108:109] op_sel:[0,0,1] op_sel_hi:[1,0,0]
	v_pk_fma_f32 v[108:109], v[98:99], s[0:1], v[108:109] op_sel:[0,0,1] op_sel_hi:[1,0,0] neg_lo:[0,0,1] neg_hi:[0,0,1]
	v_mov_b32_e32 v112, v110
	v_mov_b32_e32 v113, v109
	v_pk_add_f32 v[102:103], v[112:113], v[102:103]
	v_pk_mul_f32 v[112:113], v[50:51], s[24:25] op_sel_hi:[1,0]
	v_pk_fma_f32 v[142:143], v[82:83], s[12:13], v[140:141] op_sel:[0,0,1] op_sel_hi:[1,0,0]
	v_pk_fma_f32 v[114:115], v[48:49], s[6:7], v[112:113] op_sel:[0,0,1] op_sel_hi:[1,0,0]
	v_pk_fma_f32 v[112:113], v[48:49], s[6:7], v[112:113] op_sel:[0,0,1] op_sel_hi:[1,0,0] neg_lo:[0,0,1] neg_hi:[0,0,1]
	v_mov_b32_e32 v116, v114
	v_mov_b32_e32 v117, v113
	v_pk_add_f32 v[116:117], v[0:1], v[116:117]
	v_pk_fma_f32 v[140:141], v[82:83], s[12:13], v[140:141] op_sel:[0,0,1] op_sel_hi:[1,0,0] neg_lo:[0,0,1] neg_hi:[0,0,1]
	v_pk_add_f32 v[116:117], v[122:123], v[116:117]
	v_pk_mul_f32 v[122:123], v[90:91], s[30:31] op_sel_hi:[1,0]
	v_mov_b32_e32 v144, v142
	v_pk_fma_f32 v[124:125], v[88:89], s[8:9], v[122:123] op_sel:[0,0,1] op_sel_hi:[1,0,0]
	v_pk_fma_f32 v[122:123], v[88:89], s[8:9], v[122:123] op_sel:[0,0,1] op_sel_hi:[1,0,0] neg_lo:[0,0,1] neg_hi:[0,0,1]
	v_mov_b32_e32 v126, v124
	v_mov_b32_e32 v127, v123
	v_pk_add_f32 v[116:117], v[126:127], v[116:117]
	v_pk_mul_f32 v[126:127], v[84:85], s[26:27] op_sel_hi:[1,0]
	v_mov_b32_e32 v145, v141
	v_pk_fma_f32 v[128:129], v[92:93], s[0:1], v[126:127] op_sel:[0,0,1] op_sel_hi:[1,0,0]
	v_pk_fma_f32 v[126:127], v[92:93], s[0:1], v[126:127] op_sel:[0,0,1] op_sel_hi:[1,0,0] neg_lo:[0,0,1] neg_hi:[0,0,1]
	v_mov_b32_e32 v130, v128
	v_mov_b32_e32 v131, v127
	v_pk_add_f32 v[116:117], v[130:131], v[116:117]
	v_pk_mul_f32 v[130:131], v[96:97], s[16:17] op_sel_hi:[1,0]
	s_mov_b32 s28, 0x3f52af12
	v_pk_fma_f32 v[132:133], v[94:95], s[2:3], v[130:131] op_sel:[0,0,1] op_sel_hi:[1,0,0]
	v_pk_fma_f32 v[130:131], v[94:95], s[2:3], v[130:131] op_sel:[0,0,1] op_sel_hi:[1,0,0] neg_lo:[0,0,1] neg_hi:[0,0,1]
	v_mov_b32_e32 v134, v132
	v_mov_b32_e32 v135, v131
	v_pk_add_f32 v[116:117], v[134:135], v[116:117]
	v_pk_mul_f32 v[134:135], v[100:101], s[14:15] op_sel_hi:[1,0]
	v_pk_mul_f32 v[166:167], v[86:87], s[22:23] op_sel_hi:[1,0]
	v_pk_fma_f32 v[136:137], v[98:99], s[12:13], v[134:135] op_sel:[0,0,1] op_sel_hi:[1,0,0]
	v_pk_fma_f32 v[134:135], v[98:99], s[12:13], v[134:135] op_sel:[0,0,1] op_sel_hi:[1,0,0] neg_lo:[0,0,1] neg_hi:[0,0,1]
	v_mov_b32_e32 v138, v136
	v_mov_b32_e32 v139, v135
	v_pk_add_f32 v[116:117], v[138:139], v[116:117]
	ds_write2_b64 v65, v[102:103], v[116:117] offset0:52 offset1:78
	v_pk_mul_f32 v[102:103], v[50:51], s[10:11] op_sel_hi:[1,0]
	v_pk_fma_f32 v[168:169], v[82:83], s[6:7], v[166:167] op_sel:[0,0,1] op_sel_hi:[1,0,0]
	v_pk_fma_f32 v[116:117], v[48:49], s[8:9], v[102:103] op_sel:[0,0,1] op_sel_hi:[1,0,0]
	v_pk_fma_f32 v[102:103], v[48:49], s[8:9], v[102:103] op_sel:[0,0,1] op_sel_hi:[1,0,0] neg_lo:[0,0,1] neg_hi:[0,0,1]
	v_mov_b32_e32 v138, v116
	v_mov_b32_e32 v139, v103
	v_pk_add_f32 v[138:139], v[0:1], v[138:139]
	v_pk_fma_f32 v[166:167], v[82:83], s[6:7], v[166:167] op_sel:[0,0,1] op_sel_hi:[1,0,0] neg_lo:[0,0,1] neg_hi:[0,0,1]
	v_pk_add_f32 v[138:139], v[144:145], v[138:139]
	v_pk_mul_f32 v[144:145], v[90:91], s[26:27] op_sel_hi:[1,0]
	v_mov_b32_e32 v170, v168
	v_pk_fma_f32 v[146:147], v[88:89], s[0:1], v[144:145] op_sel:[0,0,1] op_sel_hi:[1,0,0]
	v_pk_fma_f32 v[144:145], v[88:89], s[0:1], v[144:145] op_sel:[0,0,1] op_sel_hi:[1,0,0] neg_lo:[0,0,1] neg_hi:[0,0,1]
	v_mov_b32_e32 v148, v146
	v_mov_b32_e32 v149, v145
	v_pk_add_f32 v[138:139], v[148:149], v[138:139]
	v_pk_mul_f32 v[148:149], v[84:85], s[24:25] op_sel_hi:[1,0]
	s_mov_b32 s24, 0x3e750f2a
	v_pk_fma_f32 v[150:151], v[92:93], s[6:7], v[148:149] op_sel:[0,0,1] op_sel_hi:[1,0,0]
	v_pk_fma_f32 v[148:149], v[92:93], s[6:7], v[148:149] op_sel:[0,0,1] op_sel_hi:[1,0,0] neg_lo:[0,0,1] neg_hi:[0,0,1]
	v_mov_b32_e32 v152, v150
	v_mov_b32_e32 v153, v149
	v_pk_add_f32 v[138:139], v[152:153], v[138:139]
	v_pk_mul_f32 v[152:153], v[96:97], s[24:25] op_sel_hi:[1,0]
	v_mov_b32_e32 v171, v167
	v_pk_fma_f32 v[154:155], v[94:95], s[18:19], v[152:153] op_sel:[0,0,1] op_sel_hi:[1,0,0]
	v_pk_fma_f32 v[152:153], v[94:95], s[18:19], v[152:153] op_sel:[0,0,1] op_sel_hi:[1,0,0] neg_lo:[0,0,1] neg_hi:[0,0,1]
	v_mov_b32_e32 v156, v154
	v_mov_b32_e32 v157, v153
	v_pk_add_f32 v[138:139], v[156:157], v[138:139]
	v_pk_mul_f32 v[156:157], v[100:101], s[28:29] op_sel_hi:[1,0]
	v_pk_mul_f32 v[86:87], v[86:87], s[26:27] op_sel_hi:[1,0]
	v_pk_fma_f32 v[158:159], v[98:99], s[2:3], v[156:157] op_sel:[0,0,1] op_sel_hi:[1,0,0]
	v_pk_fma_f32 v[156:157], v[98:99], s[2:3], v[156:157] op_sel:[0,0,1] op_sel_hi:[1,0,0] neg_lo:[0,0,1] neg_hi:[0,0,1]
	v_mov_b32_e32 v160, v158
	v_mov_b32_e32 v161, v157
	v_pk_add_f32 v[138:139], v[160:161], v[138:139]
	v_pk_mul_f32 v[160:161], v[50:51], s[14:15] op_sel_hi:[1,0]
	v_pk_mul_f32 v[50:51], v[50:51], s[20:21] op_sel_hi:[1,0]
	v_pk_fma_f32 v[162:163], v[48:49], s[12:13], v[160:161] op_sel:[0,0,1] op_sel_hi:[1,0,0]
	v_pk_fma_f32 v[160:161], v[48:49], s[12:13], v[160:161] op_sel:[0,0,1] op_sel_hi:[1,0,0] neg_lo:[0,0,1] neg_hi:[0,0,1]
	v_mov_b32_e32 v164, v162
	v_mov_b32_e32 v165, v161
	v_pk_add_f32 v[164:165], v[0:1], v[164:165]
	v_mov_b32_e32 v161, v163
	v_pk_add_f32 v[164:165], v[170:171], v[164:165]
	v_pk_mul_f32 v[170:171], v[90:91], s[16:17] op_sel_hi:[1,0]
	v_mov_b32_e32 v103, v117
	v_pk_fma_f32 v[172:173], v[88:89], s[2:3], v[170:171] op_sel:[0,0,1] op_sel_hi:[1,0,0]
	v_pk_fma_f32 v[170:171], v[88:89], s[2:3], v[170:171] op_sel:[0,0,1] op_sel_hi:[1,0,0] neg_lo:[0,0,1] neg_hi:[0,0,1]
	v_mov_b32_e32 v174, v172
	v_mov_b32_e32 v175, v171
	v_pk_add_f32 v[164:165], v[174:175], v[164:165]
	v_pk_mul_f32 v[174:175], v[84:85], s[24:25] op_sel_hi:[1,0]
	v_pk_mul_f32 v[84:85], v[84:85], s[28:29] op_sel_hi:[1,0]
	v_pk_fma_f32 v[176:177], v[92:93], s[18:19], v[174:175] op_sel:[0,0,1] op_sel_hi:[1,0,0]
	v_pk_fma_f32 v[174:175], v[92:93], s[18:19], v[174:175] op_sel:[0,0,1] op_sel_hi:[1,0,0] neg_lo:[0,0,1] neg_hi:[0,0,1]
	v_mov_b32_e32 v178, v176
	v_mov_b32_e32 v179, v175
	v_pk_add_f32 v[164:165], v[178:179], v[164:165]
	v_pk_mul_f32 v[178:179], v[96:97], s[26:27] op_sel_hi:[1,0]
	v_mov_b32_e32 v167, v169
	v_pk_fma_f32 v[180:181], v[94:95], s[0:1], v[178:179] op_sel:[0,0,1] op_sel_hi:[1,0,0]
	v_pk_fma_f32 v[178:179], v[94:95], s[0:1], v[178:179] op_sel:[0,0,1] op_sel_hi:[1,0,0] neg_lo:[0,0,1] neg_hi:[0,0,1]
	v_mov_b32_e32 v182, v180
	v_mov_b32_e32 v183, v179
	v_pk_add_f32 v[164:165], v[182:183], v[164:165]
	v_pk_mul_f32 v[182:183], v[100:101], s[10:11] op_sel_hi:[1,0]
	v_mov_b32_e32 v141, v143
	v_pk_fma_f32 v[184:185], v[98:99], s[8:9], v[182:183] op_sel:[0,0,1] op_sel_hi:[1,0,0]
	v_pk_fma_f32 v[182:183], v[98:99], s[8:9], v[182:183] op_sel:[0,0,1] op_sel_hi:[1,0,0] neg_lo:[0,0,1] neg_hi:[0,0,1]
	v_mov_b32_e32 v186, v184
	v_mov_b32_e32 v187, v183
	v_pk_add_f32 v[164:165], v[186:187], v[164:165]
	ds_write2_b64 v65, v[138:139], v[164:165] offset0:104 offset1:130
	v_pk_fma_f32 v[138:139], v[48:49], s[18:19], v[50:51] op_sel:[0,0,1] op_sel_hi:[1,0,0]
	v_pk_fma_f32 v[48:49], v[48:49], s[18:19], v[50:51] op_sel:[0,0,1] op_sel_hi:[1,0,0] neg_lo:[0,0,1] neg_hi:[0,0,1]
	v_mov_b32_e32 v50, v138
	v_mov_b32_e32 v51, v49
	v_pk_fma_f32 v[164:165], v[82:83], s[0:1], v[86:87] op_sel:[0,0,1] op_sel_hi:[1,0,0]
	v_pk_fma_f32 v[82:83], v[82:83], s[0:1], v[86:87] op_sel:[0,0,1] op_sel_hi:[1,0,0] neg_lo:[0,0,1] neg_hi:[0,0,1]
	v_pk_add_f32 v[50:51], v[0:1], v[50:51]
	v_mov_b32_e32 v86, v164
	v_mov_b32_e32 v87, v83
	v_pk_add_f32 v[50:51], v[86:87], v[50:51]
	v_pk_mul_f32 v[86:87], v[90:91], s[14:15] op_sel_hi:[1,0]
	v_mov_b32_e32 v49, v139
	v_pk_fma_f32 v[90:91], v[88:89], s[12:13], v[86:87] op_sel:[0,0,1] op_sel_hi:[1,0,0]
	v_pk_fma_f32 v[86:87], v[88:89], s[12:13], v[86:87] op_sel:[0,0,1] op_sel_hi:[1,0,0] neg_lo:[0,0,1] neg_hi:[0,0,1]
	v_mov_b32_e32 v88, v90
	v_mov_b32_e32 v89, v87
	v_pk_add_f32 v[50:51], v[88:89], v[50:51]
	v_pk_fma_f32 v[88:89], v[92:93], s[2:3], v[84:85] op_sel:[0,0,1] op_sel_hi:[1,0,0]
	v_pk_fma_f32 v[84:85], v[92:93], s[2:3], v[84:85] op_sel:[0,0,1] op_sel_hi:[1,0,0] neg_lo:[0,0,1] neg_hi:[0,0,1]
	v_mov_b32_e32 v92, v88
	v_mov_b32_e32 v93, v85
	v_pk_add_f32 v[50:51], v[92:93], v[50:51]
	v_pk_mul_f32 v[92:93], v[96:97], s[10:11] op_sel_hi:[1,0]
	v_pk_add_f32 v[48:49], v[0:1], v[48:49]
	v_pk_fma_f32 v[96:97], v[94:95], s[8:9], v[92:93] op_sel:[0,0,1] op_sel_hi:[1,0,0]
	v_pk_fma_f32 v[92:93], v[94:95], s[8:9], v[92:93] op_sel:[0,0,1] op_sel_hi:[1,0,0] neg_lo:[0,0,1] neg_hi:[0,0,1]
	v_mov_b32_e32 v83, v165
	v_mov_b32_e32 v94, v96
	;; [unrolled: 1-line block ×3, first 2 shown]
	v_pk_add_f32 v[48:49], v[82:83], v[48:49]
	v_mov_b32_e32 v87, v91
	v_pk_add_f32 v[50:51], v[94:95], v[50:51]
	v_pk_mul_f32 v[94:95], v[100:101], s[22:23] op_sel_hi:[1,0]
	v_pk_add_f32 v[48:49], v[86:87], v[48:49]
	v_mov_b32_e32 v85, v89
	v_pk_fma_f32 v[100:101], v[98:99], s[6:7], v[94:95] op_sel:[0,0,1] op_sel_hi:[1,0,0]
	v_pk_fma_f32 v[94:95], v[98:99], s[6:7], v[94:95] op_sel:[0,0,1] op_sel_hi:[1,0,0] neg_lo:[0,0,1] neg_hi:[0,0,1]
	v_pk_add_f32 v[48:49], v[84:85], v[48:49]
	v_mov_b32_e32 v93, v97
	v_mov_b32_e32 v98, v100
	;; [unrolled: 1-line block ×3, first 2 shown]
	v_pk_add_f32 v[48:49], v[92:93], v[48:49]
	v_mov_b32_e32 v95, v101
	v_pk_add_f32 v[50:51], v[98:99], v[50:51]
	v_pk_add_f32 v[48:49], v[94:95], v[48:49]
	ds_write2_b64 v65, v[50:51], v[48:49] offset0:156 offset1:182
	v_pk_add_f32 v[48:49], v[0:1], v[160:161]
	v_pk_add_f32 v[50:51], v[0:1], v[102:103]
	v_pk_add_f32 v[48:49], v[166:167], v[48:49]
	v_mov_b32_e32 v171, v173
	v_pk_add_f32 v[50:51], v[140:141], v[50:51]
	v_mov_b32_e32 v145, v147
	v_pk_add_f32 v[48:49], v[170:171], v[48:49]
	;; [unrolled: 2-line block ×8, first 2 shown]
	v_pk_add_f32 v[50:51], v[156:157], v[50:51]
	v_mov_b32_e32 v113, v115
	v_mov_b32_e32 v33, v27
	;; [unrolled: 1-line block ×3, first 2 shown]
	ds_write2_b64 v65, v[48:49], v[50:51] offset0:208 offset1:234
	v_pk_add_f32 v[48:49], v[0:1], v[112:113]
	v_mov_b32_e32 v119, v121
	v_pk_add_f32 v[26:27], v[0:1], v[32:33]
	v_mov_b32_e32 v37, v35
	;; [unrolled: 2-line block ×15, first 2 shown]
	v_pk_add_f32 v[48:49], v[134:135], v[48:49]
	v_pk_add_f32 v[26:27], v[108:109], v[26:27]
	;; [unrolled: 1-line block ×3, first 2 shown]
	ds_write2_b64 v46, v[48:49], v[26:27] offset0:4 offset1:30
	ds_write_b64 v65, v[0:1] offset:2496
	s_waitcnt lgkmcnt(0)
	; wave barrier
	s_waitcnt lgkmcnt(0)
	ds_read2_b64 v[0:3], v65 offset1:26
	v_mov_b32_e32 v4, v31
	v_mad_u64_u32 v[4:5], s[0:1], s7, v64, v[4:5]
	v_mov_b32_e32 v31, v4
	s_waitcnt lgkmcnt(0)
	v_mul_f32_e32 v4, v81, v1
	v_fmac_f32_e32 v4, v80, v0
	v_mul_f32_e32 v0, v81, v0
	s_mov_b32 s0, 0x7ab2bedd
	v_fma_f32 v0, v80, v1, -v0
	v_cvt_f64_f32_e32 v[4:5], v4
	s_mov_b32 s1, 0x3f683c97
	v_cvt_f64_f32_e32 v[0:1], v0
	v_mul_f64 v[4:5], v[4:5], s[0:1]
	v_mul_f64 v[0:1], v[0:1], s[0:1]
	v_mov_b32_e32 v29, s3
	v_cvt_f32_f64_e32 v4, v[4:5]
	v_cvt_f32_f64_e32 v5, v[0:1]
	v_mad_u64_u32 v[0:1], s[2:3], s4, v52, 0
	v_mov_b32_e32 v6, v1
	v_mad_u64_u32 v[6:7], s[2:3], s5, v52, v[6:7]
	v_mov_b32_e32 v1, v6
	v_lshl_add_u64 v[6:7], v[30:31], 3, v[28:29]
	v_lshl_add_u64 v[6:7], v[0:1], 3, v[6:7]
	v_mul_f32_e32 v0, v77, v3
	v_fmac_f32_e32 v0, v76, v2
	v_cvt_f64_f32_e32 v[0:1], v0
	v_mul_f64 v[0:1], v[0:1], s[0:1]
	global_store_dwordx2 v[6:7], v[4:5], off
	v_cvt_f32_f64_e32 v4, v[0:1]
	v_mul_f32_e32 v0, v77, v2
	v_fma_f32 v0, v76, v3, -v0
	v_cvt_f64_f32_e32 v[0:1], v0
	v_mul_f64 v[0:1], v[0:1], s[0:1]
	v_cvt_f32_f64_e32 v5, v[0:1]
	ds_read2_b64 v[0:3], v65 offset0:52 offset1:78
	v_mov_b32_e32 v8, 0xd0
	v_mad_u64_u32 v[6:7], s[2:3], s4, v8, v[6:7]
	s_mul_i32 s2, s5, 0xd0
	s_nop 0
	v_add_u32_e32 v7, s2, v7
	global_store_dwordx2 v[6:7], v[4:5], off
	s_waitcnt lgkmcnt(0)
	v_mul_f32_e32 v4, v73, v1
	v_fmac_f32_e32 v4, v72, v0
	v_mul_f32_e32 v0, v73, v0
	v_fma_f32 v0, v72, v1, -v0
	v_cvt_f64_f32_e32 v[4:5], v4
	v_cvt_f64_f32_e32 v[0:1], v0
	v_mul_f64 v[4:5], v[4:5], s[0:1]
	v_mul_f64 v[0:1], v[0:1], s[0:1]
	v_cvt_f32_f64_e32 v4, v[4:5]
	v_cvt_f32_f64_e32 v5, v[0:1]
	v_mul_f32_e32 v0, v71, v3
	v_fmac_f32_e32 v0, v70, v2
	v_mad_u64_u32 v[6:7], s[6:7], s4, v8, v[6:7]
	v_cvt_f64_f32_e32 v[0:1], v0
	v_add_u32_e32 v7, s2, v7
	v_mul_f64 v[0:1], v[0:1], s[0:1]
	global_store_dwordx2 v[6:7], v[4:5], off
	v_cvt_f32_f64_e32 v4, v[0:1]
	v_mul_f32_e32 v0, v71, v2
	v_fma_f32 v0, v70, v3, -v0
	v_cvt_f64_f32_e32 v[0:1], v0
	v_mul_f64 v[0:1], v[0:1], s[0:1]
	v_cvt_f32_f64_e32 v5, v[0:1]
	ds_read2_b64 v[0:3], v65 offset0:104 offset1:130
	v_mad_u64_u32 v[6:7], s[6:7], s4, v8, v[6:7]
	v_add_u32_e32 v7, s2, v7
	global_store_dwordx2 v[6:7], v[4:5], off
	s_waitcnt lgkmcnt(0)
	v_mul_f32_e32 v4, v69, v1
	v_fmac_f32_e32 v4, v68, v0
	v_mul_f32_e32 v0, v69, v0
	v_fma_f32 v0, v68, v1, -v0
	v_cvt_f64_f32_e32 v[4:5], v4
	v_cvt_f64_f32_e32 v[0:1], v0
	v_mul_f64 v[4:5], v[4:5], s[0:1]
	v_mul_f64 v[0:1], v[0:1], s[0:1]
	v_cvt_f32_f64_e32 v4, v[4:5]
	v_cvt_f32_f64_e32 v5, v[0:1]
	v_mul_f32_e32 v0, v63, v3
	v_fmac_f32_e32 v0, v62, v2
	v_mad_u64_u32 v[6:7], s[6:7], s4, v8, v[6:7]
	v_cvt_f64_f32_e32 v[0:1], v0
	v_add_u32_e32 v7, s2, v7
	v_mul_f64 v[0:1], v[0:1], s[0:1]
	global_store_dwordx2 v[6:7], v[4:5], off
	v_cvt_f32_f64_e32 v4, v[0:1]
	v_mul_f32_e32 v0, v63, v2
	v_fma_f32 v0, v62, v3, -v0
	v_cvt_f64_f32_e32 v[0:1], v0
	v_mul_f64 v[0:1], v[0:1], s[0:1]
	v_cvt_f32_f64_e32 v5, v[0:1]
	ds_read2_b64 v[0:3], v65 offset0:156 offset1:182
	v_mad_u64_u32 v[6:7], s[6:7], s4, v8, v[6:7]
	;; [unrolled: 28-line block ×4, first 2 shown]
	v_add_u32_e32 v7, s2, v7
	global_store_dwordx2 v[6:7], v[4:5], off
	s_waitcnt lgkmcnt(0)
	v_mul_f32_e32 v4, v67, v1
	v_fmac_f32_e32 v4, v66, v0
	v_mul_f32_e32 v0, v67, v0
	v_fma_f32 v0, v66, v1, -v0
	v_cvt_f64_f32_e32 v[4:5], v4
	v_cvt_f64_f32_e32 v[0:1], v0
	v_mul_f64 v[4:5], v[4:5], s[0:1]
	v_mul_f64 v[0:1], v[0:1], s[0:1]
	v_cvt_f32_f64_e32 v4, v[4:5]
	v_cvt_f32_f64_e32 v5, v[0:1]
	v_mad_u64_u32 v[0:1], s[6:7], s4, v8, v[6:7]
	v_add_u32_e32 v1, s2, v1
	global_store_dwordx2 v[0:1], v[4:5], off
	v_mul_f32_e32 v4, v57, v3
	v_fmac_f32_e32 v4, v56, v2
	v_mul_f32_e32 v2, v57, v2
	v_fma_f32 v2, v56, v3, -v2
	v_cvt_f64_f32_e32 v[4:5], v4
	v_cvt_f64_f32_e32 v[2:3], v2
	v_mul_f64 v[4:5], v[4:5], s[0:1]
	v_mul_f64 v[2:3], v[2:3], s[0:1]
	v_cvt_f32_f64_e32 v4, v[4:5]
	v_cvt_f32_f64_e32 v5, v[2:3]
	ds_read_b64 v[2:3], v65 offset:2496
	v_mad_u64_u32 v[0:1], s[6:7], s4, v8, v[0:1]
	v_add_u32_e32 v1, s2, v1
	global_store_dwordx2 v[0:1], v[4:5], off
	s_waitcnt lgkmcnt(0)
	v_mul_f32_e32 v4, v61, v3
	v_fmac_f32_e32 v4, v60, v2
	v_mul_f32_e32 v2, v61, v2
	v_fma_f32 v2, v60, v3, -v2
	v_cvt_f64_f32_e32 v[4:5], v4
	v_cvt_f64_f32_e32 v[2:3], v2
	v_mul_f64 v[4:5], v[4:5], s[0:1]
	v_mul_f64 v[2:3], v[2:3], s[0:1]
	v_mad_u64_u32 v[0:1], s[0:1], s4, v8, v[0:1]
	v_cvt_f32_f64_e32 v4, v[4:5]
	v_cvt_f32_f64_e32 v5, v[2:3]
	v_add_u32_e32 v1, s2, v1
	global_store_dwordx2 v[0:1], v[4:5], off
.LBB0_10:
	s_endpgm
	.section	.rodata,"a",@progbits
	.p2align	6, 0x0
	.amdhsa_kernel bluestein_single_back_len338_dim1_sp_op_CI_CI
		.amdhsa_group_segment_fixed_size 5408
		.amdhsa_private_segment_fixed_size 0
		.amdhsa_kernarg_size 104
		.amdhsa_user_sgpr_count 2
		.amdhsa_user_sgpr_dispatch_ptr 0
		.amdhsa_user_sgpr_queue_ptr 0
		.amdhsa_user_sgpr_kernarg_segment_ptr 1
		.amdhsa_user_sgpr_dispatch_id 0
		.amdhsa_user_sgpr_kernarg_preload_length 0
		.amdhsa_user_sgpr_kernarg_preload_offset 0
		.amdhsa_user_sgpr_private_segment_size 0
		.amdhsa_uses_dynamic_stack 0
		.amdhsa_enable_private_segment 0
		.amdhsa_system_sgpr_workgroup_id_x 1
		.amdhsa_system_sgpr_workgroup_id_y 0
		.amdhsa_system_sgpr_workgroup_id_z 0
		.amdhsa_system_sgpr_workgroup_info 0
		.amdhsa_system_vgpr_workitem_id 0
		.amdhsa_next_free_vgpr 254
		.amdhsa_next_free_sgpr 54
		.amdhsa_accum_offset 256
		.amdhsa_reserve_vcc 1
		.amdhsa_float_round_mode_32 0
		.amdhsa_float_round_mode_16_64 0
		.amdhsa_float_denorm_mode_32 3
		.amdhsa_float_denorm_mode_16_64 3
		.amdhsa_dx10_clamp 1
		.amdhsa_ieee_mode 1
		.amdhsa_fp16_overflow 0
		.amdhsa_tg_split 0
		.amdhsa_exception_fp_ieee_invalid_op 0
		.amdhsa_exception_fp_denorm_src 0
		.amdhsa_exception_fp_ieee_div_zero 0
		.amdhsa_exception_fp_ieee_overflow 0
		.amdhsa_exception_fp_ieee_underflow 0
		.amdhsa_exception_fp_ieee_inexact 0
		.amdhsa_exception_int_div_zero 0
	.end_amdhsa_kernel
	.text
.Lfunc_end0:
	.size	bluestein_single_back_len338_dim1_sp_op_CI_CI, .Lfunc_end0-bluestein_single_back_len338_dim1_sp_op_CI_CI
                                        ; -- End function
	.section	.AMDGPU.csdata,"",@progbits
; Kernel info:
; codeLenInByte = 14964
; NumSgprs: 60
; NumVgprs: 254
; NumAgprs: 0
; TotalNumVgprs: 254
; ScratchSize: 0
; MemoryBound: 0
; FloatMode: 240
; IeeeMode: 1
; LDSByteSize: 5408 bytes/workgroup (compile time only)
; SGPRBlocks: 7
; VGPRBlocks: 31
; NumSGPRsForWavesPerEU: 60
; NumVGPRsForWavesPerEU: 254
; AccumOffset: 256
; Occupancy: 2
; WaveLimiterHint : 1
; COMPUTE_PGM_RSRC2:SCRATCH_EN: 0
; COMPUTE_PGM_RSRC2:USER_SGPR: 2
; COMPUTE_PGM_RSRC2:TRAP_HANDLER: 0
; COMPUTE_PGM_RSRC2:TGID_X_EN: 1
; COMPUTE_PGM_RSRC2:TGID_Y_EN: 0
; COMPUTE_PGM_RSRC2:TGID_Z_EN: 0
; COMPUTE_PGM_RSRC2:TIDIG_COMP_CNT: 0
; COMPUTE_PGM_RSRC3_GFX90A:ACCUM_OFFSET: 63
; COMPUTE_PGM_RSRC3_GFX90A:TG_SPLIT: 0
	.text
	.p2alignl 6, 3212836864
	.fill 256, 4, 3212836864
	.type	__hip_cuid_6a1edb3403160f6d,@object ; @__hip_cuid_6a1edb3403160f6d
	.section	.bss,"aw",@nobits
	.globl	__hip_cuid_6a1edb3403160f6d
__hip_cuid_6a1edb3403160f6d:
	.byte	0                               ; 0x0
	.size	__hip_cuid_6a1edb3403160f6d, 1

	.ident	"AMD clang version 19.0.0git (https://github.com/RadeonOpenCompute/llvm-project roc-6.4.0 25133 c7fe45cf4b819c5991fe208aaa96edf142730f1d)"
	.section	".note.GNU-stack","",@progbits
	.addrsig
	.addrsig_sym __hip_cuid_6a1edb3403160f6d
	.amdgpu_metadata
---
amdhsa.kernels:
  - .agpr_count:     0
    .args:
      - .actual_access:  read_only
        .address_space:  global
        .offset:         0
        .size:           8
        .value_kind:     global_buffer
      - .actual_access:  read_only
        .address_space:  global
        .offset:         8
        .size:           8
        .value_kind:     global_buffer
      - .actual_access:  read_only
        .address_space:  global
        .offset:         16
        .size:           8
        .value_kind:     global_buffer
      - .actual_access:  read_only
        .address_space:  global
        .offset:         24
        .size:           8
        .value_kind:     global_buffer
      - .actual_access:  read_only
        .address_space:  global
        .offset:         32
        .size:           8
        .value_kind:     global_buffer
      - .offset:         40
        .size:           8
        .value_kind:     by_value
      - .address_space:  global
        .offset:         48
        .size:           8
        .value_kind:     global_buffer
      - .address_space:  global
        .offset:         56
        .size:           8
        .value_kind:     global_buffer
      - .address_space:  global
        .offset:         64
        .size:           8
        .value_kind:     global_buffer
      - .address_space:  global
        .offset:         72
        .size:           8
        .value_kind:     global_buffer
      - .offset:         80
        .size:           4
        .value_kind:     by_value
      - .address_space:  global
        .offset:         88
        .size:           8
        .value_kind:     global_buffer
      - .address_space:  global
        .offset:         96
        .size:           8
        .value_kind:     global_buffer
    .group_segment_fixed_size: 5408
    .kernarg_segment_align: 8
    .kernarg_segment_size: 104
    .language:       OpenCL C
    .language_version:
      - 2
      - 0
    .max_flat_workgroup_size: 52
    .name:           bluestein_single_back_len338_dim1_sp_op_CI_CI
    .private_segment_fixed_size: 0
    .sgpr_count:     60
    .sgpr_spill_count: 0
    .symbol:         bluestein_single_back_len338_dim1_sp_op_CI_CI.kd
    .uniform_work_group_size: 1
    .uses_dynamic_stack: false
    .vgpr_count:     254
    .vgpr_spill_count: 0
    .wavefront_size: 64
amdhsa.target:   amdgcn-amd-amdhsa--gfx950
amdhsa.version:
  - 1
  - 2
...

	.end_amdgpu_metadata
